;; amdgpu-corpus repo=ROCm/rocSPARSE kind=compiled arch=gfx1100 opt=O3
	.text
	.amdgcn_target "amdgcn-amd-amdhsa--gfx1100"
	.amdhsa_code_object_version 6
	.section	.text._ZN9rocsparseL16coo2dense_kernelILj512EiDF16_EEvT0_S1_ll21rocsparse_index_base_PKT1_PKS1_S7_PS3_16rocsparse_order_,"axG",@progbits,_ZN9rocsparseL16coo2dense_kernelILj512EiDF16_EEvT0_S1_ll21rocsparse_index_base_PKT1_PKS1_S7_PS3_16rocsparse_order_,comdat
	.globl	_ZN9rocsparseL16coo2dense_kernelILj512EiDF16_EEvT0_S1_ll21rocsparse_index_base_PKT1_PKS1_S7_PS3_16rocsparse_order_ ; -- Begin function _ZN9rocsparseL16coo2dense_kernelILj512EiDF16_EEvT0_S1_ll21rocsparse_index_base_PKT1_PKS1_S7_PS3_16rocsparse_order_
	.p2align	8
	.type	_ZN9rocsparseL16coo2dense_kernelILj512EiDF16_EEvT0_S1_ll21rocsparse_index_base_PKT1_PKS1_S7_PS3_16rocsparse_order_,@function
_ZN9rocsparseL16coo2dense_kernelILj512EiDF16_EEvT0_S1_ll21rocsparse_index_base_PKT1_PKS1_S7_PS3_16rocsparse_order_: ; @_ZN9rocsparseL16coo2dense_kernelILj512EiDF16_EEvT0_S1_ll21rocsparse_index_base_PKT1_PKS1_S7_PS3_16rocsparse_order_
; %bb.0:
	s_load_b128 s[16:19], s[0:1], 0x8
	v_lshl_or_b32 v0, s15, 9, v0
	v_mov_b32_e32 v1, 0
	s_mov_b32 s2, exec_lo
	s_waitcnt lgkmcnt(0)
	s_delay_alu instid0(VALU_DEP_1)
	v_cmpx_gt_i64_e64 s[16:17], v[0:1]
	s_cbranch_execz .LBB0_2
; %bb.1:
	s_load_b256 s[4:11], s[0:1], 0x20
	v_lshlrev_b64 v[2:3], 2, v[0:1]
	v_lshlrev_b64 v[0:1], 1, v[0:1]
	s_waitcnt lgkmcnt(0)
	s_delay_alu instid0(VALU_DEP_2) | instskip(NEXT) | instid1(VALU_DEP_3)
	v_add_co_u32 v4, vcc_lo, s6, v2
	v_add_co_ci_u32_e32 v5, vcc_lo, s7, v3, vcc_lo
	v_add_co_u32 v2, vcc_lo, s8, v2
	v_add_co_ci_u32_e32 v3, vcc_lo, s9, v3, vcc_lo
	v_add_co_u32 v0, vcc_lo, s4, v0
	global_load_b32 v4, v[4:5], off
	global_load_b32 v2, v[2:3], off
	v_add_co_ci_u32_e32 v1, vcc_lo, s5, v1, vcc_lo
	global_load_u16 v5, v[0:1], off
	s_clause 0x1
	s_load_b32 s2, s[0:1], 0x18
	s_load_b32 s0, s[0:1], 0x40
	s_waitcnt lgkmcnt(0)
	s_cmp_eq_u32 s0, 1
	s_cselect_b32 vcc_lo, -1, 0
	s_waitcnt vmcnt(2)
	v_subrev_nc_u32_e32 v3, s2, v4
	s_waitcnt vmcnt(1)
	v_subrev_nc_u32_e32 v2, s2, v2
	s_delay_alu instid0(VALU_DEP_1) | instskip(SKIP_1) | instid1(VALU_DEP_2)
	v_cndmask_b32_e32 v4, v3, v2, vcc_lo
	v_cndmask_b32_e32 v2, v2, v3, vcc_lo
	v_ashrrev_i32_e32 v6, 31, v4
	v_mul_lo_u32 v7, v4, s19
	v_mad_u64_u32 v[0:1], null, v4, s18, 0
	s_delay_alu instid0(VALU_DEP_4) | instskip(NEXT) | instid1(VALU_DEP_4)
	v_ashrrev_i32_e32 v3, 31, v2
	v_mul_lo_u32 v4, v6, s18
	s_delay_alu instid0(VALU_DEP_2) | instskip(NEXT) | instid1(VALU_DEP_2)
	v_lshlrev_b64 v[2:3], 1, v[2:3]
	v_add3_u32 v1, v1, v7, v4
	s_delay_alu instid0(VALU_DEP_1) | instskip(NEXT) | instid1(VALU_DEP_1)
	v_lshlrev_b64 v[0:1], 1, v[0:1]
	v_add_co_u32 v0, vcc_lo, s10, v0
	s_delay_alu instid0(VALU_DEP_2) | instskip(NEXT) | instid1(VALU_DEP_2)
	v_add_co_ci_u32_e32 v1, vcc_lo, s11, v1, vcc_lo
	v_add_co_u32 v0, vcc_lo, v0, v2
	s_delay_alu instid0(VALU_DEP_2)
	v_add_co_ci_u32_e32 v1, vcc_lo, v1, v3, vcc_lo
	s_waitcnt vmcnt(0)
	global_store_b16 v[0:1], v5, off
.LBB0_2:
	s_nop 0
	s_sendmsg sendmsg(MSG_DEALLOC_VGPRS)
	s_endpgm
	.section	.rodata,"a",@progbits
	.p2align	6, 0x0
	.amdhsa_kernel _ZN9rocsparseL16coo2dense_kernelILj512EiDF16_EEvT0_S1_ll21rocsparse_index_base_PKT1_PKS1_S7_PS3_16rocsparse_order_
		.amdhsa_group_segment_fixed_size 0
		.amdhsa_private_segment_fixed_size 0
		.amdhsa_kernarg_size 68
		.amdhsa_user_sgpr_count 15
		.amdhsa_user_sgpr_dispatch_ptr 0
		.amdhsa_user_sgpr_queue_ptr 0
		.amdhsa_user_sgpr_kernarg_segment_ptr 1
		.amdhsa_user_sgpr_dispatch_id 0
		.amdhsa_user_sgpr_private_segment_size 0
		.amdhsa_wavefront_size32 1
		.amdhsa_uses_dynamic_stack 0
		.amdhsa_enable_private_segment 0
		.amdhsa_system_sgpr_workgroup_id_x 1
		.amdhsa_system_sgpr_workgroup_id_y 0
		.amdhsa_system_sgpr_workgroup_id_z 0
		.amdhsa_system_sgpr_workgroup_info 0
		.amdhsa_system_vgpr_workitem_id 0
		.amdhsa_next_free_vgpr 8
		.amdhsa_next_free_sgpr 20
		.amdhsa_reserve_vcc 1
		.amdhsa_float_round_mode_32 0
		.amdhsa_float_round_mode_16_64 0
		.amdhsa_float_denorm_mode_32 3
		.amdhsa_float_denorm_mode_16_64 3
		.amdhsa_dx10_clamp 1
		.amdhsa_ieee_mode 1
		.amdhsa_fp16_overflow 0
		.amdhsa_workgroup_processor_mode 1
		.amdhsa_memory_ordered 1
		.amdhsa_forward_progress 0
		.amdhsa_shared_vgpr_count 0
		.amdhsa_exception_fp_ieee_invalid_op 0
		.amdhsa_exception_fp_denorm_src 0
		.amdhsa_exception_fp_ieee_div_zero 0
		.amdhsa_exception_fp_ieee_overflow 0
		.amdhsa_exception_fp_ieee_underflow 0
		.amdhsa_exception_fp_ieee_inexact 0
		.amdhsa_exception_int_div_zero 0
	.end_amdhsa_kernel
	.section	.text._ZN9rocsparseL16coo2dense_kernelILj512EiDF16_EEvT0_S1_ll21rocsparse_index_base_PKT1_PKS1_S7_PS3_16rocsparse_order_,"axG",@progbits,_ZN9rocsparseL16coo2dense_kernelILj512EiDF16_EEvT0_S1_ll21rocsparse_index_base_PKT1_PKS1_S7_PS3_16rocsparse_order_,comdat
.Lfunc_end0:
	.size	_ZN9rocsparseL16coo2dense_kernelILj512EiDF16_EEvT0_S1_ll21rocsparse_index_base_PKT1_PKS1_S7_PS3_16rocsparse_order_, .Lfunc_end0-_ZN9rocsparseL16coo2dense_kernelILj512EiDF16_EEvT0_S1_ll21rocsparse_index_base_PKT1_PKS1_S7_PS3_16rocsparse_order_
                                        ; -- End function
	.section	.AMDGPU.csdata,"",@progbits
; Kernel info:
; codeLenInByte = 320
; NumSgprs: 22
; NumVgprs: 8
; ScratchSize: 0
; MemoryBound: 0
; FloatMode: 240
; IeeeMode: 1
; LDSByteSize: 0 bytes/workgroup (compile time only)
; SGPRBlocks: 2
; VGPRBlocks: 0
; NumSGPRsForWavesPerEU: 22
; NumVGPRsForWavesPerEU: 8
; Occupancy: 16
; WaveLimiterHint : 1
; COMPUTE_PGM_RSRC2:SCRATCH_EN: 0
; COMPUTE_PGM_RSRC2:USER_SGPR: 15
; COMPUTE_PGM_RSRC2:TRAP_HANDLER: 0
; COMPUTE_PGM_RSRC2:TGID_X_EN: 1
; COMPUTE_PGM_RSRC2:TGID_Y_EN: 0
; COMPUTE_PGM_RSRC2:TGID_Z_EN: 0
; COMPUTE_PGM_RSRC2:TIDIG_COMP_CNT: 0
	.section	.text._ZN9rocsparseL16coo2dense_kernelILj512Ei18rocsparse_bfloat16EEvT0_S2_ll21rocsparse_index_base_PKT1_PKS2_S8_PS4_16rocsparse_order_,"axG",@progbits,_ZN9rocsparseL16coo2dense_kernelILj512Ei18rocsparse_bfloat16EEvT0_S2_ll21rocsparse_index_base_PKT1_PKS2_S8_PS4_16rocsparse_order_,comdat
	.globl	_ZN9rocsparseL16coo2dense_kernelILj512Ei18rocsparse_bfloat16EEvT0_S2_ll21rocsparse_index_base_PKT1_PKS2_S8_PS4_16rocsparse_order_ ; -- Begin function _ZN9rocsparseL16coo2dense_kernelILj512Ei18rocsparse_bfloat16EEvT0_S2_ll21rocsparse_index_base_PKT1_PKS2_S8_PS4_16rocsparse_order_
	.p2align	8
	.type	_ZN9rocsparseL16coo2dense_kernelILj512Ei18rocsparse_bfloat16EEvT0_S2_ll21rocsparse_index_base_PKT1_PKS2_S8_PS4_16rocsparse_order_,@function
_ZN9rocsparseL16coo2dense_kernelILj512Ei18rocsparse_bfloat16EEvT0_S2_ll21rocsparse_index_base_PKT1_PKS2_S8_PS4_16rocsparse_order_: ; @_ZN9rocsparseL16coo2dense_kernelILj512Ei18rocsparse_bfloat16EEvT0_S2_ll21rocsparse_index_base_PKT1_PKS2_S8_PS4_16rocsparse_order_
; %bb.0:
	s_load_b128 s[16:19], s[0:1], 0x8
	v_lshl_or_b32 v0, s15, 9, v0
	v_mov_b32_e32 v1, 0
	s_mov_b32 s2, exec_lo
	s_waitcnt lgkmcnt(0)
	s_delay_alu instid0(VALU_DEP_1)
	v_cmpx_gt_i64_e64 s[16:17], v[0:1]
	s_cbranch_execz .LBB1_2
; %bb.1:
	s_load_b256 s[4:11], s[0:1], 0x20
	v_lshlrev_b64 v[2:3], 2, v[0:1]
	v_lshlrev_b64 v[0:1], 1, v[0:1]
	s_waitcnt lgkmcnt(0)
	s_delay_alu instid0(VALU_DEP_2) | instskip(NEXT) | instid1(VALU_DEP_3)
	v_add_co_u32 v4, vcc_lo, s6, v2
	v_add_co_ci_u32_e32 v5, vcc_lo, s7, v3, vcc_lo
	v_add_co_u32 v2, vcc_lo, s8, v2
	v_add_co_ci_u32_e32 v3, vcc_lo, s9, v3, vcc_lo
	v_add_co_u32 v0, vcc_lo, s4, v0
	global_load_b32 v4, v[4:5], off
	global_load_b32 v2, v[2:3], off
	v_add_co_ci_u32_e32 v1, vcc_lo, s5, v1, vcc_lo
	global_load_u16 v5, v[0:1], off
	s_clause 0x1
	s_load_b32 s2, s[0:1], 0x18
	s_load_b32 s0, s[0:1], 0x40
	s_waitcnt lgkmcnt(0)
	s_cmp_eq_u32 s0, 1
	s_cselect_b32 vcc_lo, -1, 0
	s_waitcnt vmcnt(2)
	v_subrev_nc_u32_e32 v3, s2, v4
	s_waitcnt vmcnt(1)
	v_subrev_nc_u32_e32 v2, s2, v2
	s_delay_alu instid0(VALU_DEP_1) | instskip(SKIP_1) | instid1(VALU_DEP_2)
	v_cndmask_b32_e32 v4, v3, v2, vcc_lo
	v_cndmask_b32_e32 v2, v2, v3, vcc_lo
	v_ashrrev_i32_e32 v6, 31, v4
	v_mul_lo_u32 v7, v4, s19
	v_mad_u64_u32 v[0:1], null, v4, s18, 0
	s_delay_alu instid0(VALU_DEP_4) | instskip(NEXT) | instid1(VALU_DEP_4)
	v_ashrrev_i32_e32 v3, 31, v2
	v_mul_lo_u32 v4, v6, s18
	s_delay_alu instid0(VALU_DEP_2) | instskip(NEXT) | instid1(VALU_DEP_2)
	v_lshlrev_b64 v[2:3], 1, v[2:3]
	v_add3_u32 v1, v1, v7, v4
	s_delay_alu instid0(VALU_DEP_1) | instskip(NEXT) | instid1(VALU_DEP_1)
	v_lshlrev_b64 v[0:1], 1, v[0:1]
	v_add_co_u32 v0, vcc_lo, s10, v0
	s_delay_alu instid0(VALU_DEP_2) | instskip(NEXT) | instid1(VALU_DEP_2)
	v_add_co_ci_u32_e32 v1, vcc_lo, s11, v1, vcc_lo
	v_add_co_u32 v0, vcc_lo, v0, v2
	s_delay_alu instid0(VALU_DEP_2)
	v_add_co_ci_u32_e32 v1, vcc_lo, v1, v3, vcc_lo
	s_waitcnt vmcnt(0)
	global_store_b16 v[0:1], v5, off
.LBB1_2:
	s_nop 0
	s_sendmsg sendmsg(MSG_DEALLOC_VGPRS)
	s_endpgm
	.section	.rodata,"a",@progbits
	.p2align	6, 0x0
	.amdhsa_kernel _ZN9rocsparseL16coo2dense_kernelILj512Ei18rocsparse_bfloat16EEvT0_S2_ll21rocsparse_index_base_PKT1_PKS2_S8_PS4_16rocsparse_order_
		.amdhsa_group_segment_fixed_size 0
		.amdhsa_private_segment_fixed_size 0
		.amdhsa_kernarg_size 68
		.amdhsa_user_sgpr_count 15
		.amdhsa_user_sgpr_dispatch_ptr 0
		.amdhsa_user_sgpr_queue_ptr 0
		.amdhsa_user_sgpr_kernarg_segment_ptr 1
		.amdhsa_user_sgpr_dispatch_id 0
		.amdhsa_user_sgpr_private_segment_size 0
		.amdhsa_wavefront_size32 1
		.amdhsa_uses_dynamic_stack 0
		.amdhsa_enable_private_segment 0
		.amdhsa_system_sgpr_workgroup_id_x 1
		.amdhsa_system_sgpr_workgroup_id_y 0
		.amdhsa_system_sgpr_workgroup_id_z 0
		.amdhsa_system_sgpr_workgroup_info 0
		.amdhsa_system_vgpr_workitem_id 0
		.amdhsa_next_free_vgpr 8
		.amdhsa_next_free_sgpr 20
		.amdhsa_reserve_vcc 1
		.amdhsa_float_round_mode_32 0
		.amdhsa_float_round_mode_16_64 0
		.amdhsa_float_denorm_mode_32 3
		.amdhsa_float_denorm_mode_16_64 3
		.amdhsa_dx10_clamp 1
		.amdhsa_ieee_mode 1
		.amdhsa_fp16_overflow 0
		.amdhsa_workgroup_processor_mode 1
		.amdhsa_memory_ordered 1
		.amdhsa_forward_progress 0
		.amdhsa_shared_vgpr_count 0
		.amdhsa_exception_fp_ieee_invalid_op 0
		.amdhsa_exception_fp_denorm_src 0
		.amdhsa_exception_fp_ieee_div_zero 0
		.amdhsa_exception_fp_ieee_overflow 0
		.amdhsa_exception_fp_ieee_underflow 0
		.amdhsa_exception_fp_ieee_inexact 0
		.amdhsa_exception_int_div_zero 0
	.end_amdhsa_kernel
	.section	.text._ZN9rocsparseL16coo2dense_kernelILj512Ei18rocsparse_bfloat16EEvT0_S2_ll21rocsparse_index_base_PKT1_PKS2_S8_PS4_16rocsparse_order_,"axG",@progbits,_ZN9rocsparseL16coo2dense_kernelILj512Ei18rocsparse_bfloat16EEvT0_S2_ll21rocsparse_index_base_PKT1_PKS2_S8_PS4_16rocsparse_order_,comdat
.Lfunc_end1:
	.size	_ZN9rocsparseL16coo2dense_kernelILj512Ei18rocsparse_bfloat16EEvT0_S2_ll21rocsparse_index_base_PKT1_PKS2_S8_PS4_16rocsparse_order_, .Lfunc_end1-_ZN9rocsparseL16coo2dense_kernelILj512Ei18rocsparse_bfloat16EEvT0_S2_ll21rocsparse_index_base_PKT1_PKS2_S8_PS4_16rocsparse_order_
                                        ; -- End function
	.section	.AMDGPU.csdata,"",@progbits
; Kernel info:
; codeLenInByte = 320
; NumSgprs: 22
; NumVgprs: 8
; ScratchSize: 0
; MemoryBound: 0
; FloatMode: 240
; IeeeMode: 1
; LDSByteSize: 0 bytes/workgroup (compile time only)
; SGPRBlocks: 2
; VGPRBlocks: 0
; NumSGPRsForWavesPerEU: 22
; NumVGPRsForWavesPerEU: 8
; Occupancy: 16
; WaveLimiterHint : 1
; COMPUTE_PGM_RSRC2:SCRATCH_EN: 0
; COMPUTE_PGM_RSRC2:USER_SGPR: 15
; COMPUTE_PGM_RSRC2:TRAP_HANDLER: 0
; COMPUTE_PGM_RSRC2:TGID_X_EN: 1
; COMPUTE_PGM_RSRC2:TGID_Y_EN: 0
; COMPUTE_PGM_RSRC2:TGID_Z_EN: 0
; COMPUTE_PGM_RSRC2:TIDIG_COMP_CNT: 0
	.section	.text._ZN9rocsparseL16coo2dense_kernelILj512EifEEvT0_S1_ll21rocsparse_index_base_PKT1_PKS1_S7_PS3_16rocsparse_order_,"axG",@progbits,_ZN9rocsparseL16coo2dense_kernelILj512EifEEvT0_S1_ll21rocsparse_index_base_PKT1_PKS1_S7_PS3_16rocsparse_order_,comdat
	.globl	_ZN9rocsparseL16coo2dense_kernelILj512EifEEvT0_S1_ll21rocsparse_index_base_PKT1_PKS1_S7_PS3_16rocsparse_order_ ; -- Begin function _ZN9rocsparseL16coo2dense_kernelILj512EifEEvT0_S1_ll21rocsparse_index_base_PKT1_PKS1_S7_PS3_16rocsparse_order_
	.p2align	8
	.type	_ZN9rocsparseL16coo2dense_kernelILj512EifEEvT0_S1_ll21rocsparse_index_base_PKT1_PKS1_S7_PS3_16rocsparse_order_,@function
_ZN9rocsparseL16coo2dense_kernelILj512EifEEvT0_S1_ll21rocsparse_index_base_PKT1_PKS1_S7_PS3_16rocsparse_order_: ; @_ZN9rocsparseL16coo2dense_kernelILj512EifEEvT0_S1_ll21rocsparse_index_base_PKT1_PKS1_S7_PS3_16rocsparse_order_
; %bb.0:
	s_load_b128 s[4:7], s[0:1], 0x8
	v_lshl_or_b32 v0, s15, 9, v0
	v_mov_b32_e32 v1, 0
	s_mov_b32 s2, exec_lo
	s_waitcnt lgkmcnt(0)
	s_delay_alu instid0(VALU_DEP_1)
	v_cmpx_gt_i64_e64 s[4:5], v[0:1]
	s_cbranch_execz .LBB2_2
; %bb.1:
	s_load_b256 s[8:15], s[0:1], 0x20
	v_lshlrev_b64 v[0:1], 2, v[0:1]
	s_waitcnt lgkmcnt(0)
	s_delay_alu instid0(VALU_DEP_1) | instskip(NEXT) | instid1(VALU_DEP_2)
	v_add_co_u32 v2, vcc_lo, s10, v0
	v_add_co_ci_u32_e32 v3, vcc_lo, s11, v1, vcc_lo
	v_add_co_u32 v4, vcc_lo, s12, v0
	v_add_co_ci_u32_e32 v5, vcc_lo, s13, v1, vcc_lo
	v_add_co_u32 v0, vcc_lo, s8, v0
	global_load_b32 v2, v[2:3], off
	global_load_b32 v3, v[4:5], off
	v_add_co_ci_u32_e32 v1, vcc_lo, s9, v1, vcc_lo
	global_load_b32 v4, v[0:1], off
	s_clause 0x1
	s_load_b32 s2, s[0:1], 0x18
	s_load_b32 s0, s[0:1], 0x40
	s_waitcnt lgkmcnt(0)
	s_cmp_eq_u32 s0, 1
	s_cselect_b32 vcc_lo, -1, 0
	s_waitcnt vmcnt(2)
	v_subrev_nc_u32_e32 v2, s2, v2
	s_waitcnt vmcnt(1)
	v_subrev_nc_u32_e32 v3, s2, v3
	s_delay_alu instid0(VALU_DEP_1) | instskip(NEXT) | instid1(VALU_DEP_1)
	v_dual_cndmask_b32 v5, v2, v3 :: v_dual_cndmask_b32 v2, v3, v2
	v_ashrrev_i32_e32 v6, 31, v5
	v_mul_lo_u32 v7, v5, s7
	v_mad_u64_u32 v[0:1], null, v5, s6, 0
	s_delay_alu instid0(VALU_DEP_4) | instskip(NEXT) | instid1(VALU_DEP_4)
	v_ashrrev_i32_e32 v3, 31, v2
	v_mul_lo_u32 v5, v6, s6
	s_delay_alu instid0(VALU_DEP_2) | instskip(NEXT) | instid1(VALU_DEP_2)
	v_lshlrev_b64 v[2:3], 2, v[2:3]
	v_add3_u32 v1, v1, v7, v5
	s_delay_alu instid0(VALU_DEP_1) | instskip(NEXT) | instid1(VALU_DEP_1)
	v_lshlrev_b64 v[0:1], 2, v[0:1]
	v_add_co_u32 v0, vcc_lo, s14, v0
	s_delay_alu instid0(VALU_DEP_2) | instskip(NEXT) | instid1(VALU_DEP_2)
	v_add_co_ci_u32_e32 v1, vcc_lo, s15, v1, vcc_lo
	v_add_co_u32 v0, vcc_lo, v0, v2
	s_delay_alu instid0(VALU_DEP_2)
	v_add_co_ci_u32_e32 v1, vcc_lo, v1, v3, vcc_lo
	s_waitcnt vmcnt(0)
	global_store_b32 v[0:1], v4, off
.LBB2_2:
	s_nop 0
	s_sendmsg sendmsg(MSG_DEALLOC_VGPRS)
	s_endpgm
	.section	.rodata,"a",@progbits
	.p2align	6, 0x0
	.amdhsa_kernel _ZN9rocsparseL16coo2dense_kernelILj512EifEEvT0_S1_ll21rocsparse_index_base_PKT1_PKS1_S7_PS3_16rocsparse_order_
		.amdhsa_group_segment_fixed_size 0
		.amdhsa_private_segment_fixed_size 0
		.amdhsa_kernarg_size 68
		.amdhsa_user_sgpr_count 15
		.amdhsa_user_sgpr_dispatch_ptr 0
		.amdhsa_user_sgpr_queue_ptr 0
		.amdhsa_user_sgpr_kernarg_segment_ptr 1
		.amdhsa_user_sgpr_dispatch_id 0
		.amdhsa_user_sgpr_private_segment_size 0
		.amdhsa_wavefront_size32 1
		.amdhsa_uses_dynamic_stack 0
		.amdhsa_enable_private_segment 0
		.amdhsa_system_sgpr_workgroup_id_x 1
		.amdhsa_system_sgpr_workgroup_id_y 0
		.amdhsa_system_sgpr_workgroup_id_z 0
		.amdhsa_system_sgpr_workgroup_info 0
		.amdhsa_system_vgpr_workitem_id 0
		.amdhsa_next_free_vgpr 8
		.amdhsa_next_free_sgpr 16
		.amdhsa_reserve_vcc 1
		.amdhsa_float_round_mode_32 0
		.amdhsa_float_round_mode_16_64 0
		.amdhsa_float_denorm_mode_32 3
		.amdhsa_float_denorm_mode_16_64 3
		.amdhsa_dx10_clamp 1
		.amdhsa_ieee_mode 1
		.amdhsa_fp16_overflow 0
		.amdhsa_workgroup_processor_mode 1
		.amdhsa_memory_ordered 1
		.amdhsa_forward_progress 0
		.amdhsa_shared_vgpr_count 0
		.amdhsa_exception_fp_ieee_invalid_op 0
		.amdhsa_exception_fp_denorm_src 0
		.amdhsa_exception_fp_ieee_div_zero 0
		.amdhsa_exception_fp_ieee_overflow 0
		.amdhsa_exception_fp_ieee_underflow 0
		.amdhsa_exception_fp_ieee_inexact 0
		.amdhsa_exception_int_div_zero 0
	.end_amdhsa_kernel
	.section	.text._ZN9rocsparseL16coo2dense_kernelILj512EifEEvT0_S1_ll21rocsparse_index_base_PKT1_PKS1_S7_PS3_16rocsparse_order_,"axG",@progbits,_ZN9rocsparseL16coo2dense_kernelILj512EifEEvT0_S1_ll21rocsparse_index_base_PKT1_PKS1_S7_PS3_16rocsparse_order_,comdat
.Lfunc_end2:
	.size	_ZN9rocsparseL16coo2dense_kernelILj512EifEEvT0_S1_ll21rocsparse_index_base_PKT1_PKS1_S7_PS3_16rocsparse_order_, .Lfunc_end2-_ZN9rocsparseL16coo2dense_kernelILj512EifEEvT0_S1_ll21rocsparse_index_base_PKT1_PKS1_S7_PS3_16rocsparse_order_
                                        ; -- End function
	.section	.AMDGPU.csdata,"",@progbits
; Kernel info:
; codeLenInByte = 312
; NumSgprs: 18
; NumVgprs: 8
; ScratchSize: 0
; MemoryBound: 0
; FloatMode: 240
; IeeeMode: 1
; LDSByteSize: 0 bytes/workgroup (compile time only)
; SGPRBlocks: 2
; VGPRBlocks: 0
; NumSGPRsForWavesPerEU: 18
; NumVGPRsForWavesPerEU: 8
; Occupancy: 16
; WaveLimiterHint : 1
; COMPUTE_PGM_RSRC2:SCRATCH_EN: 0
; COMPUTE_PGM_RSRC2:USER_SGPR: 15
; COMPUTE_PGM_RSRC2:TRAP_HANDLER: 0
; COMPUTE_PGM_RSRC2:TGID_X_EN: 1
; COMPUTE_PGM_RSRC2:TGID_Y_EN: 0
; COMPUTE_PGM_RSRC2:TGID_Z_EN: 0
; COMPUTE_PGM_RSRC2:TIDIG_COMP_CNT: 0
	.section	.text._ZN9rocsparseL16coo2dense_kernelILj512EidEEvT0_S1_ll21rocsparse_index_base_PKT1_PKS1_S7_PS3_16rocsparse_order_,"axG",@progbits,_ZN9rocsparseL16coo2dense_kernelILj512EidEEvT0_S1_ll21rocsparse_index_base_PKT1_PKS1_S7_PS3_16rocsparse_order_,comdat
	.globl	_ZN9rocsparseL16coo2dense_kernelILj512EidEEvT0_S1_ll21rocsparse_index_base_PKT1_PKS1_S7_PS3_16rocsparse_order_ ; -- Begin function _ZN9rocsparseL16coo2dense_kernelILj512EidEEvT0_S1_ll21rocsparse_index_base_PKT1_PKS1_S7_PS3_16rocsparse_order_
	.p2align	8
	.type	_ZN9rocsparseL16coo2dense_kernelILj512EidEEvT0_S1_ll21rocsparse_index_base_PKT1_PKS1_S7_PS3_16rocsparse_order_,@function
_ZN9rocsparseL16coo2dense_kernelILj512EidEEvT0_S1_ll21rocsparse_index_base_PKT1_PKS1_S7_PS3_16rocsparse_order_: ; @_ZN9rocsparseL16coo2dense_kernelILj512EidEEvT0_S1_ll21rocsparse_index_base_PKT1_PKS1_S7_PS3_16rocsparse_order_
; %bb.0:
	s_load_b128 s[16:19], s[0:1], 0x8
	v_lshl_or_b32 v0, s15, 9, v0
	v_mov_b32_e32 v1, 0
	s_mov_b32 s2, exec_lo
	s_waitcnt lgkmcnt(0)
	s_delay_alu instid0(VALU_DEP_1)
	v_cmpx_gt_i64_e64 s[16:17], v[0:1]
	s_cbranch_execz .LBB3_2
; %bb.1:
	s_load_b256 s[4:11], s[0:1], 0x20
	v_lshlrev_b64 v[2:3], 2, v[0:1]
	v_lshlrev_b64 v[0:1], 3, v[0:1]
	s_waitcnt lgkmcnt(0)
	s_delay_alu instid0(VALU_DEP_2) | instskip(NEXT) | instid1(VALU_DEP_3)
	v_add_co_u32 v4, vcc_lo, s6, v2
	v_add_co_ci_u32_e32 v5, vcc_lo, s7, v3, vcc_lo
	v_add_co_u32 v2, vcc_lo, s8, v2
	v_add_co_ci_u32_e32 v3, vcc_lo, s9, v3, vcc_lo
	v_add_co_u32 v0, vcc_lo, s4, v0
	global_load_b32 v4, v[4:5], off
	global_load_b32 v2, v[2:3], off
	v_add_co_ci_u32_e32 v1, vcc_lo, s5, v1, vcc_lo
	global_load_b64 v[0:1], v[0:1], off
	s_clause 0x1
	s_load_b32 s2, s[0:1], 0x18
	s_load_b32 s0, s[0:1], 0x40
	s_waitcnt lgkmcnt(0)
	s_cmp_eq_u32 s0, 1
	s_cselect_b32 vcc_lo, -1, 0
	s_waitcnt vmcnt(2)
	v_subrev_nc_u32_e32 v4, s2, v4
	s_waitcnt vmcnt(1)
	v_subrev_nc_u32_e32 v5, s2, v2
	s_delay_alu instid0(VALU_DEP_1) | instskip(SKIP_1) | instid1(VALU_DEP_2)
	v_cndmask_b32_e32 v6, v4, v5, vcc_lo
	v_cndmask_b32_e32 v4, v5, v4, vcc_lo
	v_ashrrev_i32_e32 v7, 31, v6
	v_mul_lo_u32 v8, v6, s19
	v_mad_u64_u32 v[2:3], null, v6, s18, 0
	s_delay_alu instid0(VALU_DEP_4) | instskip(NEXT) | instid1(VALU_DEP_4)
	v_ashrrev_i32_e32 v5, 31, v4
	v_mul_lo_u32 v6, v7, s18
	s_delay_alu instid0(VALU_DEP_2) | instskip(NEXT) | instid1(VALU_DEP_2)
	v_lshlrev_b64 v[4:5], 3, v[4:5]
	v_add3_u32 v3, v3, v8, v6
	s_delay_alu instid0(VALU_DEP_1) | instskip(NEXT) | instid1(VALU_DEP_1)
	v_lshlrev_b64 v[2:3], 3, v[2:3]
	v_add_co_u32 v2, vcc_lo, s10, v2
	s_delay_alu instid0(VALU_DEP_2) | instskip(NEXT) | instid1(VALU_DEP_2)
	v_add_co_ci_u32_e32 v3, vcc_lo, s11, v3, vcc_lo
	v_add_co_u32 v2, vcc_lo, v2, v4
	s_delay_alu instid0(VALU_DEP_2)
	v_add_co_ci_u32_e32 v3, vcc_lo, v3, v5, vcc_lo
	s_waitcnt vmcnt(0)
	global_store_b64 v[2:3], v[0:1], off
.LBB3_2:
	s_nop 0
	s_sendmsg sendmsg(MSG_DEALLOC_VGPRS)
	s_endpgm
	.section	.rodata,"a",@progbits
	.p2align	6, 0x0
	.amdhsa_kernel _ZN9rocsparseL16coo2dense_kernelILj512EidEEvT0_S1_ll21rocsparse_index_base_PKT1_PKS1_S7_PS3_16rocsparse_order_
		.amdhsa_group_segment_fixed_size 0
		.amdhsa_private_segment_fixed_size 0
		.amdhsa_kernarg_size 68
		.amdhsa_user_sgpr_count 15
		.amdhsa_user_sgpr_dispatch_ptr 0
		.amdhsa_user_sgpr_queue_ptr 0
		.amdhsa_user_sgpr_kernarg_segment_ptr 1
		.amdhsa_user_sgpr_dispatch_id 0
		.amdhsa_user_sgpr_private_segment_size 0
		.amdhsa_wavefront_size32 1
		.amdhsa_uses_dynamic_stack 0
		.amdhsa_enable_private_segment 0
		.amdhsa_system_sgpr_workgroup_id_x 1
		.amdhsa_system_sgpr_workgroup_id_y 0
		.amdhsa_system_sgpr_workgroup_id_z 0
		.amdhsa_system_sgpr_workgroup_info 0
		.amdhsa_system_vgpr_workitem_id 0
		.amdhsa_next_free_vgpr 9
		.amdhsa_next_free_sgpr 20
		.amdhsa_reserve_vcc 1
		.amdhsa_float_round_mode_32 0
		.amdhsa_float_round_mode_16_64 0
		.amdhsa_float_denorm_mode_32 3
		.amdhsa_float_denorm_mode_16_64 3
		.amdhsa_dx10_clamp 1
		.amdhsa_ieee_mode 1
		.amdhsa_fp16_overflow 0
		.amdhsa_workgroup_processor_mode 1
		.amdhsa_memory_ordered 1
		.amdhsa_forward_progress 0
		.amdhsa_shared_vgpr_count 0
		.amdhsa_exception_fp_ieee_invalid_op 0
		.amdhsa_exception_fp_denorm_src 0
		.amdhsa_exception_fp_ieee_div_zero 0
		.amdhsa_exception_fp_ieee_overflow 0
		.amdhsa_exception_fp_ieee_underflow 0
		.amdhsa_exception_fp_ieee_inexact 0
		.amdhsa_exception_int_div_zero 0
	.end_amdhsa_kernel
	.section	.text._ZN9rocsparseL16coo2dense_kernelILj512EidEEvT0_S1_ll21rocsparse_index_base_PKT1_PKS1_S7_PS3_16rocsparse_order_,"axG",@progbits,_ZN9rocsparseL16coo2dense_kernelILj512EidEEvT0_S1_ll21rocsparse_index_base_PKT1_PKS1_S7_PS3_16rocsparse_order_,comdat
.Lfunc_end3:
	.size	_ZN9rocsparseL16coo2dense_kernelILj512EidEEvT0_S1_ll21rocsparse_index_base_PKT1_PKS1_S7_PS3_16rocsparse_order_, .Lfunc_end3-_ZN9rocsparseL16coo2dense_kernelILj512EidEEvT0_S1_ll21rocsparse_index_base_PKT1_PKS1_S7_PS3_16rocsparse_order_
                                        ; -- End function
	.section	.AMDGPU.csdata,"",@progbits
; Kernel info:
; codeLenInByte = 320
; NumSgprs: 22
; NumVgprs: 9
; ScratchSize: 0
; MemoryBound: 0
; FloatMode: 240
; IeeeMode: 1
; LDSByteSize: 0 bytes/workgroup (compile time only)
; SGPRBlocks: 2
; VGPRBlocks: 1
; NumSGPRsForWavesPerEU: 22
; NumVGPRsForWavesPerEU: 9
; Occupancy: 16
; WaveLimiterHint : 1
; COMPUTE_PGM_RSRC2:SCRATCH_EN: 0
; COMPUTE_PGM_RSRC2:USER_SGPR: 15
; COMPUTE_PGM_RSRC2:TRAP_HANDLER: 0
; COMPUTE_PGM_RSRC2:TGID_X_EN: 1
; COMPUTE_PGM_RSRC2:TGID_Y_EN: 0
; COMPUTE_PGM_RSRC2:TGID_Z_EN: 0
; COMPUTE_PGM_RSRC2:TIDIG_COMP_CNT: 0
	.section	.text._ZN9rocsparseL16coo2dense_kernelILj512Ei21rocsparse_complex_numIfEEEvT0_S3_ll21rocsparse_index_base_PKT1_PKS3_S9_PS5_16rocsparse_order_,"axG",@progbits,_ZN9rocsparseL16coo2dense_kernelILj512Ei21rocsparse_complex_numIfEEEvT0_S3_ll21rocsparse_index_base_PKT1_PKS3_S9_PS5_16rocsparse_order_,comdat
	.globl	_ZN9rocsparseL16coo2dense_kernelILj512Ei21rocsparse_complex_numIfEEEvT0_S3_ll21rocsparse_index_base_PKT1_PKS3_S9_PS5_16rocsparse_order_ ; -- Begin function _ZN9rocsparseL16coo2dense_kernelILj512Ei21rocsparse_complex_numIfEEEvT0_S3_ll21rocsparse_index_base_PKT1_PKS3_S9_PS5_16rocsparse_order_
	.p2align	8
	.type	_ZN9rocsparseL16coo2dense_kernelILj512Ei21rocsparse_complex_numIfEEEvT0_S3_ll21rocsparse_index_base_PKT1_PKS3_S9_PS5_16rocsparse_order_,@function
_ZN9rocsparseL16coo2dense_kernelILj512Ei21rocsparse_complex_numIfEEEvT0_S3_ll21rocsparse_index_base_PKT1_PKS3_S9_PS5_16rocsparse_order_: ; @_ZN9rocsparseL16coo2dense_kernelILj512Ei21rocsparse_complex_numIfEEEvT0_S3_ll21rocsparse_index_base_PKT1_PKS3_S9_PS5_16rocsparse_order_
; %bb.0:
	s_load_b128 s[16:19], s[0:1], 0x8
	v_lshl_or_b32 v0, s15, 9, v0
	v_mov_b32_e32 v1, 0
	s_mov_b32 s2, exec_lo
	s_waitcnt lgkmcnt(0)
	s_delay_alu instid0(VALU_DEP_1)
	v_cmpx_gt_i64_e64 s[16:17], v[0:1]
	s_cbranch_execz .LBB4_2
; %bb.1:
	s_load_b256 s[4:11], s[0:1], 0x20
	v_lshlrev_b64 v[2:3], 2, v[0:1]
	v_lshlrev_b64 v[0:1], 3, v[0:1]
	s_waitcnt lgkmcnt(0)
	s_delay_alu instid0(VALU_DEP_2) | instskip(NEXT) | instid1(VALU_DEP_3)
	v_add_co_u32 v4, vcc_lo, s6, v2
	v_add_co_ci_u32_e32 v5, vcc_lo, s7, v3, vcc_lo
	v_add_co_u32 v2, vcc_lo, s8, v2
	v_add_co_ci_u32_e32 v3, vcc_lo, s9, v3, vcc_lo
	v_add_co_u32 v0, vcc_lo, s4, v0
	global_load_b32 v4, v[4:5], off
	global_load_b32 v2, v[2:3], off
	v_add_co_ci_u32_e32 v1, vcc_lo, s5, v1, vcc_lo
	global_load_b64 v[0:1], v[0:1], off
	s_clause 0x1
	s_load_b32 s2, s[0:1], 0x18
	s_load_b32 s0, s[0:1], 0x40
	s_waitcnt lgkmcnt(0)
	s_cmp_eq_u32 s0, 1
	s_cselect_b32 vcc_lo, -1, 0
	s_waitcnt vmcnt(2)
	v_subrev_nc_u32_e32 v4, s2, v4
	s_waitcnt vmcnt(1)
	v_subrev_nc_u32_e32 v5, s2, v2
	s_delay_alu instid0(VALU_DEP_1) | instskip(SKIP_1) | instid1(VALU_DEP_2)
	v_cndmask_b32_e32 v6, v4, v5, vcc_lo
	v_cndmask_b32_e32 v4, v5, v4, vcc_lo
	v_ashrrev_i32_e32 v7, 31, v6
	v_mul_lo_u32 v8, v6, s19
	v_mad_u64_u32 v[2:3], null, v6, s18, 0
	s_delay_alu instid0(VALU_DEP_4) | instskip(NEXT) | instid1(VALU_DEP_4)
	v_ashrrev_i32_e32 v5, 31, v4
	v_mul_lo_u32 v6, v7, s18
	s_delay_alu instid0(VALU_DEP_2) | instskip(NEXT) | instid1(VALU_DEP_2)
	v_lshlrev_b64 v[4:5], 3, v[4:5]
	v_add3_u32 v3, v3, v8, v6
	s_delay_alu instid0(VALU_DEP_1) | instskip(NEXT) | instid1(VALU_DEP_1)
	v_lshlrev_b64 v[2:3], 3, v[2:3]
	v_add_co_u32 v2, vcc_lo, s10, v2
	s_delay_alu instid0(VALU_DEP_2) | instskip(NEXT) | instid1(VALU_DEP_2)
	v_add_co_ci_u32_e32 v3, vcc_lo, s11, v3, vcc_lo
	v_add_co_u32 v2, vcc_lo, v2, v4
	s_delay_alu instid0(VALU_DEP_2)
	v_add_co_ci_u32_e32 v3, vcc_lo, v3, v5, vcc_lo
	s_waitcnt vmcnt(0)
	global_store_b64 v[2:3], v[0:1], off
.LBB4_2:
	s_nop 0
	s_sendmsg sendmsg(MSG_DEALLOC_VGPRS)
	s_endpgm
	.section	.rodata,"a",@progbits
	.p2align	6, 0x0
	.amdhsa_kernel _ZN9rocsparseL16coo2dense_kernelILj512Ei21rocsparse_complex_numIfEEEvT0_S3_ll21rocsparse_index_base_PKT1_PKS3_S9_PS5_16rocsparse_order_
		.amdhsa_group_segment_fixed_size 0
		.amdhsa_private_segment_fixed_size 0
		.amdhsa_kernarg_size 68
		.amdhsa_user_sgpr_count 15
		.amdhsa_user_sgpr_dispatch_ptr 0
		.amdhsa_user_sgpr_queue_ptr 0
		.amdhsa_user_sgpr_kernarg_segment_ptr 1
		.amdhsa_user_sgpr_dispatch_id 0
		.amdhsa_user_sgpr_private_segment_size 0
		.amdhsa_wavefront_size32 1
		.amdhsa_uses_dynamic_stack 0
		.amdhsa_enable_private_segment 0
		.amdhsa_system_sgpr_workgroup_id_x 1
		.amdhsa_system_sgpr_workgroup_id_y 0
		.amdhsa_system_sgpr_workgroup_id_z 0
		.amdhsa_system_sgpr_workgroup_info 0
		.amdhsa_system_vgpr_workitem_id 0
		.amdhsa_next_free_vgpr 9
		.amdhsa_next_free_sgpr 20
		.amdhsa_reserve_vcc 1
		.amdhsa_float_round_mode_32 0
		.amdhsa_float_round_mode_16_64 0
		.amdhsa_float_denorm_mode_32 3
		.amdhsa_float_denorm_mode_16_64 3
		.amdhsa_dx10_clamp 1
		.amdhsa_ieee_mode 1
		.amdhsa_fp16_overflow 0
		.amdhsa_workgroup_processor_mode 1
		.amdhsa_memory_ordered 1
		.amdhsa_forward_progress 0
		.amdhsa_shared_vgpr_count 0
		.amdhsa_exception_fp_ieee_invalid_op 0
		.amdhsa_exception_fp_denorm_src 0
		.amdhsa_exception_fp_ieee_div_zero 0
		.amdhsa_exception_fp_ieee_overflow 0
		.amdhsa_exception_fp_ieee_underflow 0
		.amdhsa_exception_fp_ieee_inexact 0
		.amdhsa_exception_int_div_zero 0
	.end_amdhsa_kernel
	.section	.text._ZN9rocsparseL16coo2dense_kernelILj512Ei21rocsparse_complex_numIfEEEvT0_S3_ll21rocsparse_index_base_PKT1_PKS3_S9_PS5_16rocsparse_order_,"axG",@progbits,_ZN9rocsparseL16coo2dense_kernelILj512Ei21rocsparse_complex_numIfEEEvT0_S3_ll21rocsparse_index_base_PKT1_PKS3_S9_PS5_16rocsparse_order_,comdat
.Lfunc_end4:
	.size	_ZN9rocsparseL16coo2dense_kernelILj512Ei21rocsparse_complex_numIfEEEvT0_S3_ll21rocsparse_index_base_PKT1_PKS3_S9_PS5_16rocsparse_order_, .Lfunc_end4-_ZN9rocsparseL16coo2dense_kernelILj512Ei21rocsparse_complex_numIfEEEvT0_S3_ll21rocsparse_index_base_PKT1_PKS3_S9_PS5_16rocsparse_order_
                                        ; -- End function
	.section	.AMDGPU.csdata,"",@progbits
; Kernel info:
; codeLenInByte = 320
; NumSgprs: 22
; NumVgprs: 9
; ScratchSize: 0
; MemoryBound: 0
; FloatMode: 240
; IeeeMode: 1
; LDSByteSize: 0 bytes/workgroup (compile time only)
; SGPRBlocks: 2
; VGPRBlocks: 1
; NumSGPRsForWavesPerEU: 22
; NumVGPRsForWavesPerEU: 9
; Occupancy: 16
; WaveLimiterHint : 1
; COMPUTE_PGM_RSRC2:SCRATCH_EN: 0
; COMPUTE_PGM_RSRC2:USER_SGPR: 15
; COMPUTE_PGM_RSRC2:TRAP_HANDLER: 0
; COMPUTE_PGM_RSRC2:TGID_X_EN: 1
; COMPUTE_PGM_RSRC2:TGID_Y_EN: 0
; COMPUTE_PGM_RSRC2:TGID_Z_EN: 0
; COMPUTE_PGM_RSRC2:TIDIG_COMP_CNT: 0
	.section	.text._ZN9rocsparseL16coo2dense_kernelILj512Ei21rocsparse_complex_numIdEEEvT0_S3_ll21rocsparse_index_base_PKT1_PKS3_S9_PS5_16rocsparse_order_,"axG",@progbits,_ZN9rocsparseL16coo2dense_kernelILj512Ei21rocsparse_complex_numIdEEEvT0_S3_ll21rocsparse_index_base_PKT1_PKS3_S9_PS5_16rocsparse_order_,comdat
	.globl	_ZN9rocsparseL16coo2dense_kernelILj512Ei21rocsparse_complex_numIdEEEvT0_S3_ll21rocsparse_index_base_PKT1_PKS3_S9_PS5_16rocsparse_order_ ; -- Begin function _ZN9rocsparseL16coo2dense_kernelILj512Ei21rocsparse_complex_numIdEEEvT0_S3_ll21rocsparse_index_base_PKT1_PKS3_S9_PS5_16rocsparse_order_
	.p2align	8
	.type	_ZN9rocsparseL16coo2dense_kernelILj512Ei21rocsparse_complex_numIdEEEvT0_S3_ll21rocsparse_index_base_PKT1_PKS3_S9_PS5_16rocsparse_order_,@function
_ZN9rocsparseL16coo2dense_kernelILj512Ei21rocsparse_complex_numIdEEEvT0_S3_ll21rocsparse_index_base_PKT1_PKS3_S9_PS5_16rocsparse_order_: ; @_ZN9rocsparseL16coo2dense_kernelILj512Ei21rocsparse_complex_numIdEEEvT0_S3_ll21rocsparse_index_base_PKT1_PKS3_S9_PS5_16rocsparse_order_
; %bb.0:
	s_load_b128 s[16:19], s[0:1], 0x8
	v_lshl_or_b32 v0, s15, 9, v0
	v_mov_b32_e32 v1, 0
	s_mov_b32 s2, exec_lo
	s_waitcnt lgkmcnt(0)
	s_delay_alu instid0(VALU_DEP_1)
	v_cmpx_gt_i64_e64 s[16:17], v[0:1]
	s_cbranch_execz .LBB5_2
; %bb.1:
	s_load_b256 s[4:11], s[0:1], 0x20
	v_lshlrev_b64 v[2:3], 2, v[0:1]
	v_lshlrev_b64 v[0:1], 4, v[0:1]
	s_waitcnt lgkmcnt(0)
	s_delay_alu instid0(VALU_DEP_2) | instskip(NEXT) | instid1(VALU_DEP_3)
	v_add_co_u32 v4, vcc_lo, s6, v2
	v_add_co_ci_u32_e32 v5, vcc_lo, s7, v3, vcc_lo
	v_add_co_u32 v2, vcc_lo, s8, v2
	v_add_co_ci_u32_e32 v3, vcc_lo, s9, v3, vcc_lo
	v_add_co_u32 v0, vcc_lo, s4, v0
	global_load_b32 v4, v[4:5], off
	global_load_b32 v5, v[2:3], off
	v_add_co_ci_u32_e32 v1, vcc_lo, s5, v1, vcc_lo
	global_load_b128 v[0:3], v[0:1], off
	s_clause 0x1
	s_load_b32 s2, s[0:1], 0x18
	s_load_b32 s0, s[0:1], 0x40
	s_waitcnt lgkmcnt(0)
	s_cmp_eq_u32 s0, 1
	s_cselect_b32 vcc_lo, -1, 0
	s_waitcnt vmcnt(2)
	v_subrev_nc_u32_e32 v6, s2, v4
	s_waitcnt vmcnt(1)
	v_subrev_nc_u32_e32 v7, s2, v5
	s_delay_alu instid0(VALU_DEP_1) | instskip(SKIP_1) | instid1(VALU_DEP_2)
	v_cndmask_b32_e32 v8, v6, v7, vcc_lo
	v_cndmask_b32_e32 v6, v7, v6, vcc_lo
	v_ashrrev_i32_e32 v9, 31, v8
	v_mul_lo_u32 v10, v8, s19
	v_mad_u64_u32 v[4:5], null, v8, s18, 0
	s_delay_alu instid0(VALU_DEP_4) | instskip(NEXT) | instid1(VALU_DEP_4)
	v_ashrrev_i32_e32 v7, 31, v6
	v_mul_lo_u32 v8, v9, s18
	s_delay_alu instid0(VALU_DEP_2) | instskip(NEXT) | instid1(VALU_DEP_2)
	v_lshlrev_b64 v[6:7], 4, v[6:7]
	v_add3_u32 v5, v5, v10, v8
	s_delay_alu instid0(VALU_DEP_1) | instskip(NEXT) | instid1(VALU_DEP_1)
	v_lshlrev_b64 v[4:5], 4, v[4:5]
	v_add_co_u32 v4, vcc_lo, s10, v4
	s_delay_alu instid0(VALU_DEP_2) | instskip(NEXT) | instid1(VALU_DEP_2)
	v_add_co_ci_u32_e32 v5, vcc_lo, s11, v5, vcc_lo
	v_add_co_u32 v4, vcc_lo, v4, v6
	s_delay_alu instid0(VALU_DEP_2)
	v_add_co_ci_u32_e32 v5, vcc_lo, v5, v7, vcc_lo
	s_waitcnt vmcnt(0)
	global_store_b128 v[4:5], v[0:3], off
.LBB5_2:
	s_nop 0
	s_sendmsg sendmsg(MSG_DEALLOC_VGPRS)
	s_endpgm
	.section	.rodata,"a",@progbits
	.p2align	6, 0x0
	.amdhsa_kernel _ZN9rocsparseL16coo2dense_kernelILj512Ei21rocsparse_complex_numIdEEEvT0_S3_ll21rocsparse_index_base_PKT1_PKS3_S9_PS5_16rocsparse_order_
		.amdhsa_group_segment_fixed_size 0
		.amdhsa_private_segment_fixed_size 0
		.amdhsa_kernarg_size 68
		.amdhsa_user_sgpr_count 15
		.amdhsa_user_sgpr_dispatch_ptr 0
		.amdhsa_user_sgpr_queue_ptr 0
		.amdhsa_user_sgpr_kernarg_segment_ptr 1
		.amdhsa_user_sgpr_dispatch_id 0
		.amdhsa_user_sgpr_private_segment_size 0
		.amdhsa_wavefront_size32 1
		.amdhsa_uses_dynamic_stack 0
		.amdhsa_enable_private_segment 0
		.amdhsa_system_sgpr_workgroup_id_x 1
		.amdhsa_system_sgpr_workgroup_id_y 0
		.amdhsa_system_sgpr_workgroup_id_z 0
		.amdhsa_system_sgpr_workgroup_info 0
		.amdhsa_system_vgpr_workitem_id 0
		.amdhsa_next_free_vgpr 11
		.amdhsa_next_free_sgpr 20
		.amdhsa_reserve_vcc 1
		.amdhsa_float_round_mode_32 0
		.amdhsa_float_round_mode_16_64 0
		.amdhsa_float_denorm_mode_32 3
		.amdhsa_float_denorm_mode_16_64 3
		.amdhsa_dx10_clamp 1
		.amdhsa_ieee_mode 1
		.amdhsa_fp16_overflow 0
		.amdhsa_workgroup_processor_mode 1
		.amdhsa_memory_ordered 1
		.amdhsa_forward_progress 0
		.amdhsa_shared_vgpr_count 0
		.amdhsa_exception_fp_ieee_invalid_op 0
		.amdhsa_exception_fp_denorm_src 0
		.amdhsa_exception_fp_ieee_div_zero 0
		.amdhsa_exception_fp_ieee_overflow 0
		.amdhsa_exception_fp_ieee_underflow 0
		.amdhsa_exception_fp_ieee_inexact 0
		.amdhsa_exception_int_div_zero 0
	.end_amdhsa_kernel
	.section	.text._ZN9rocsparseL16coo2dense_kernelILj512Ei21rocsparse_complex_numIdEEEvT0_S3_ll21rocsparse_index_base_PKT1_PKS3_S9_PS5_16rocsparse_order_,"axG",@progbits,_ZN9rocsparseL16coo2dense_kernelILj512Ei21rocsparse_complex_numIdEEEvT0_S3_ll21rocsparse_index_base_PKT1_PKS3_S9_PS5_16rocsparse_order_,comdat
.Lfunc_end5:
	.size	_ZN9rocsparseL16coo2dense_kernelILj512Ei21rocsparse_complex_numIdEEEvT0_S3_ll21rocsparse_index_base_PKT1_PKS3_S9_PS5_16rocsparse_order_, .Lfunc_end5-_ZN9rocsparseL16coo2dense_kernelILj512Ei21rocsparse_complex_numIdEEEvT0_S3_ll21rocsparse_index_base_PKT1_PKS3_S9_PS5_16rocsparse_order_
                                        ; -- End function
	.section	.AMDGPU.csdata,"",@progbits
; Kernel info:
; codeLenInByte = 320
; NumSgprs: 22
; NumVgprs: 11
; ScratchSize: 0
; MemoryBound: 0
; FloatMode: 240
; IeeeMode: 1
; LDSByteSize: 0 bytes/workgroup (compile time only)
; SGPRBlocks: 2
; VGPRBlocks: 1
; NumSGPRsForWavesPerEU: 22
; NumVGPRsForWavesPerEU: 11
; Occupancy: 16
; WaveLimiterHint : 1
; COMPUTE_PGM_RSRC2:SCRATCH_EN: 0
; COMPUTE_PGM_RSRC2:USER_SGPR: 15
; COMPUTE_PGM_RSRC2:TRAP_HANDLER: 0
; COMPUTE_PGM_RSRC2:TGID_X_EN: 1
; COMPUTE_PGM_RSRC2:TGID_Y_EN: 0
; COMPUTE_PGM_RSRC2:TGID_Z_EN: 0
; COMPUTE_PGM_RSRC2:TIDIG_COMP_CNT: 0
	.section	.text._ZN9rocsparseL16coo2dense_kernelILj512ElDF16_EEvT0_S1_ll21rocsparse_index_base_PKT1_PKS1_S7_PS3_16rocsparse_order_,"axG",@progbits,_ZN9rocsparseL16coo2dense_kernelILj512ElDF16_EEvT0_S1_ll21rocsparse_index_base_PKT1_PKS1_S7_PS3_16rocsparse_order_,comdat
	.globl	_ZN9rocsparseL16coo2dense_kernelILj512ElDF16_EEvT0_S1_ll21rocsparse_index_base_PKT1_PKS1_S7_PS3_16rocsparse_order_ ; -- Begin function _ZN9rocsparseL16coo2dense_kernelILj512ElDF16_EEvT0_S1_ll21rocsparse_index_base_PKT1_PKS1_S7_PS3_16rocsparse_order_
	.p2align	8
	.type	_ZN9rocsparseL16coo2dense_kernelILj512ElDF16_EEvT0_S1_ll21rocsparse_index_base_PKT1_PKS1_S7_PS3_16rocsparse_order_,@function
_ZN9rocsparseL16coo2dense_kernelILj512ElDF16_EEvT0_S1_ll21rocsparse_index_base_PKT1_PKS1_S7_PS3_16rocsparse_order_: ; @_ZN9rocsparseL16coo2dense_kernelILj512ElDF16_EEvT0_S1_ll21rocsparse_index_base_PKT1_PKS1_S7_PS3_16rocsparse_order_
; %bb.0:
	s_load_b128 s[16:19], s[0:1], 0x10
	v_lshl_or_b32 v0, s15, 9, v0
	v_mov_b32_e32 v1, 0
	s_mov_b32 s2, exec_lo
	s_waitcnt lgkmcnt(0)
	s_delay_alu instid0(VALU_DEP_1)
	v_cmpx_gt_i64_e64 s[16:17], v[0:1]
	s_cbranch_execz .LBB6_2
; %bb.1:
	s_load_b256 s[4:11], s[0:1], 0x28
	v_lshlrev_b64 v[2:3], 3, v[0:1]
	v_lshlrev_b64 v[0:1], 1, v[0:1]
	s_waitcnt lgkmcnt(0)
	s_delay_alu instid0(VALU_DEP_2) | instskip(NEXT) | instid1(VALU_DEP_3)
	v_add_co_u32 v4, vcc_lo, s6, v2
	v_add_co_ci_u32_e32 v5, vcc_lo, s7, v3, vcc_lo
	v_add_co_u32 v2, vcc_lo, s8, v2
	v_add_co_ci_u32_e32 v3, vcc_lo, s9, v3, vcc_lo
	v_add_co_u32 v0, vcc_lo, s4, v0
	global_load_b64 v[4:5], v[4:5], off
	global_load_b64 v[2:3], v[2:3], off
	v_add_co_ci_u32_e32 v1, vcc_lo, s5, v1, vcc_lo
	global_load_u16 v6, v[0:1], off
	s_clause 0x1
	s_load_b32 s2, s[0:1], 0x20
	s_load_b32 s0, s[0:1], 0x48
	s_waitcnt lgkmcnt(0)
	s_cmp_eq_u32 s0, 1
	s_waitcnt vmcnt(2)
	v_sub_co_u32 v4, vcc_lo, v4, s2
	v_subrev_co_ci_u32_e32 v5, vcc_lo, 0, v5, vcc_lo
	s_waitcnt vmcnt(1)
	v_sub_co_u32 v2, vcc_lo, v2, s2
	v_subrev_co_ci_u32_e32 v3, vcc_lo, 0, v3, vcc_lo
	s_cselect_b32 vcc_lo, -1, 0
	s_delay_alu instid0(VALU_DEP_1) | instskip(SKIP_1) | instid1(VALU_DEP_2)
	v_dual_cndmask_b32 v7, v4, v2 :: v_dual_cndmask_b32 v0, v5, v3
	v_dual_cndmask_b32 v3, v3, v5 :: v_dual_cndmask_b32 v2, v2, v4
	v_mul_lo_u32 v9, v7, s19
	s_delay_alu instid0(VALU_DEP_3) | instskip(SKIP_1) | instid1(VALU_DEP_4)
	v_mul_lo_u32 v8, v0, s18
	v_mad_u64_u32 v[0:1], null, v7, s18, 0
	v_lshlrev_b64 v[2:3], 1, v[2:3]
	s_delay_alu instid0(VALU_DEP_2) | instskip(NEXT) | instid1(VALU_DEP_1)
	v_add3_u32 v1, v1, v9, v8
	v_lshlrev_b64 v[0:1], 1, v[0:1]
	s_delay_alu instid0(VALU_DEP_1) | instskip(NEXT) | instid1(VALU_DEP_2)
	v_add_co_u32 v0, vcc_lo, s10, v0
	v_add_co_ci_u32_e32 v1, vcc_lo, s11, v1, vcc_lo
	s_delay_alu instid0(VALU_DEP_2) | instskip(NEXT) | instid1(VALU_DEP_2)
	v_add_co_u32 v0, vcc_lo, v0, v2
	v_add_co_ci_u32_e32 v1, vcc_lo, v1, v3, vcc_lo
	s_waitcnt vmcnt(0)
	global_store_b16 v[0:1], v6, off
.LBB6_2:
	s_nop 0
	s_sendmsg sendmsg(MSG_DEALLOC_VGPRS)
	s_endpgm
	.section	.rodata,"a",@progbits
	.p2align	6, 0x0
	.amdhsa_kernel _ZN9rocsparseL16coo2dense_kernelILj512ElDF16_EEvT0_S1_ll21rocsparse_index_base_PKT1_PKS1_S7_PS3_16rocsparse_order_
		.amdhsa_group_segment_fixed_size 0
		.amdhsa_private_segment_fixed_size 0
		.amdhsa_kernarg_size 76
		.amdhsa_user_sgpr_count 15
		.amdhsa_user_sgpr_dispatch_ptr 0
		.amdhsa_user_sgpr_queue_ptr 0
		.amdhsa_user_sgpr_kernarg_segment_ptr 1
		.amdhsa_user_sgpr_dispatch_id 0
		.amdhsa_user_sgpr_private_segment_size 0
		.amdhsa_wavefront_size32 1
		.amdhsa_uses_dynamic_stack 0
		.amdhsa_enable_private_segment 0
		.amdhsa_system_sgpr_workgroup_id_x 1
		.amdhsa_system_sgpr_workgroup_id_y 0
		.amdhsa_system_sgpr_workgroup_id_z 0
		.amdhsa_system_sgpr_workgroup_info 0
		.amdhsa_system_vgpr_workitem_id 0
		.amdhsa_next_free_vgpr 10
		.amdhsa_next_free_sgpr 20
		.amdhsa_reserve_vcc 1
		.amdhsa_float_round_mode_32 0
		.amdhsa_float_round_mode_16_64 0
		.amdhsa_float_denorm_mode_32 3
		.amdhsa_float_denorm_mode_16_64 3
		.amdhsa_dx10_clamp 1
		.amdhsa_ieee_mode 1
		.amdhsa_fp16_overflow 0
		.amdhsa_workgroup_processor_mode 1
		.amdhsa_memory_ordered 1
		.amdhsa_forward_progress 0
		.amdhsa_shared_vgpr_count 0
		.amdhsa_exception_fp_ieee_invalid_op 0
		.amdhsa_exception_fp_denorm_src 0
		.amdhsa_exception_fp_ieee_div_zero 0
		.amdhsa_exception_fp_ieee_overflow 0
		.amdhsa_exception_fp_ieee_underflow 0
		.amdhsa_exception_fp_ieee_inexact 0
		.amdhsa_exception_int_div_zero 0
	.end_amdhsa_kernel
	.section	.text._ZN9rocsparseL16coo2dense_kernelILj512ElDF16_EEvT0_S1_ll21rocsparse_index_base_PKT1_PKS1_S7_PS3_16rocsparse_order_,"axG",@progbits,_ZN9rocsparseL16coo2dense_kernelILj512ElDF16_EEvT0_S1_ll21rocsparse_index_base_PKT1_PKS1_S7_PS3_16rocsparse_order_,comdat
.Lfunc_end6:
	.size	_ZN9rocsparseL16coo2dense_kernelILj512ElDF16_EEvT0_S1_ll21rocsparse_index_base_PKT1_PKS1_S7_PS3_16rocsparse_order_, .Lfunc_end6-_ZN9rocsparseL16coo2dense_kernelILj512ElDF16_EEvT0_S1_ll21rocsparse_index_base_PKT1_PKS1_S7_PS3_16rocsparse_order_
                                        ; -- End function
	.section	.AMDGPU.csdata,"",@progbits
; Kernel info:
; codeLenInByte = 332
; NumSgprs: 22
; NumVgprs: 10
; ScratchSize: 0
; MemoryBound: 0
; FloatMode: 240
; IeeeMode: 1
; LDSByteSize: 0 bytes/workgroup (compile time only)
; SGPRBlocks: 2
; VGPRBlocks: 1
; NumSGPRsForWavesPerEU: 22
; NumVGPRsForWavesPerEU: 10
; Occupancy: 16
; WaveLimiterHint : 1
; COMPUTE_PGM_RSRC2:SCRATCH_EN: 0
; COMPUTE_PGM_RSRC2:USER_SGPR: 15
; COMPUTE_PGM_RSRC2:TRAP_HANDLER: 0
; COMPUTE_PGM_RSRC2:TGID_X_EN: 1
; COMPUTE_PGM_RSRC2:TGID_Y_EN: 0
; COMPUTE_PGM_RSRC2:TGID_Z_EN: 0
; COMPUTE_PGM_RSRC2:TIDIG_COMP_CNT: 0
	.section	.text._ZN9rocsparseL16coo2dense_kernelILj512El18rocsparse_bfloat16EEvT0_S2_ll21rocsparse_index_base_PKT1_PKS2_S8_PS4_16rocsparse_order_,"axG",@progbits,_ZN9rocsparseL16coo2dense_kernelILj512El18rocsparse_bfloat16EEvT0_S2_ll21rocsparse_index_base_PKT1_PKS2_S8_PS4_16rocsparse_order_,comdat
	.globl	_ZN9rocsparseL16coo2dense_kernelILj512El18rocsparse_bfloat16EEvT0_S2_ll21rocsparse_index_base_PKT1_PKS2_S8_PS4_16rocsparse_order_ ; -- Begin function _ZN9rocsparseL16coo2dense_kernelILj512El18rocsparse_bfloat16EEvT0_S2_ll21rocsparse_index_base_PKT1_PKS2_S8_PS4_16rocsparse_order_
	.p2align	8
	.type	_ZN9rocsparseL16coo2dense_kernelILj512El18rocsparse_bfloat16EEvT0_S2_ll21rocsparse_index_base_PKT1_PKS2_S8_PS4_16rocsparse_order_,@function
_ZN9rocsparseL16coo2dense_kernelILj512El18rocsparse_bfloat16EEvT0_S2_ll21rocsparse_index_base_PKT1_PKS2_S8_PS4_16rocsparse_order_: ; @_ZN9rocsparseL16coo2dense_kernelILj512El18rocsparse_bfloat16EEvT0_S2_ll21rocsparse_index_base_PKT1_PKS2_S8_PS4_16rocsparse_order_
; %bb.0:
	s_load_b128 s[16:19], s[0:1], 0x10
	v_lshl_or_b32 v0, s15, 9, v0
	v_mov_b32_e32 v1, 0
	s_mov_b32 s2, exec_lo
	s_waitcnt lgkmcnt(0)
	s_delay_alu instid0(VALU_DEP_1)
	v_cmpx_gt_i64_e64 s[16:17], v[0:1]
	s_cbranch_execz .LBB7_2
; %bb.1:
	s_load_b256 s[4:11], s[0:1], 0x28
	v_lshlrev_b64 v[2:3], 3, v[0:1]
	v_lshlrev_b64 v[0:1], 1, v[0:1]
	s_waitcnt lgkmcnt(0)
	s_delay_alu instid0(VALU_DEP_2) | instskip(NEXT) | instid1(VALU_DEP_3)
	v_add_co_u32 v4, vcc_lo, s6, v2
	v_add_co_ci_u32_e32 v5, vcc_lo, s7, v3, vcc_lo
	v_add_co_u32 v2, vcc_lo, s8, v2
	v_add_co_ci_u32_e32 v3, vcc_lo, s9, v3, vcc_lo
	v_add_co_u32 v0, vcc_lo, s4, v0
	global_load_b64 v[4:5], v[4:5], off
	global_load_b64 v[2:3], v[2:3], off
	v_add_co_ci_u32_e32 v1, vcc_lo, s5, v1, vcc_lo
	global_load_u16 v6, v[0:1], off
	s_clause 0x1
	s_load_b32 s2, s[0:1], 0x20
	s_load_b32 s0, s[0:1], 0x48
	s_waitcnt lgkmcnt(0)
	s_cmp_eq_u32 s0, 1
	s_waitcnt vmcnt(2)
	v_sub_co_u32 v4, vcc_lo, v4, s2
	v_subrev_co_ci_u32_e32 v5, vcc_lo, 0, v5, vcc_lo
	s_waitcnt vmcnt(1)
	v_sub_co_u32 v2, vcc_lo, v2, s2
	v_subrev_co_ci_u32_e32 v3, vcc_lo, 0, v3, vcc_lo
	s_cselect_b32 vcc_lo, -1, 0
	s_delay_alu instid0(VALU_DEP_1) | instskip(SKIP_1) | instid1(VALU_DEP_2)
	v_dual_cndmask_b32 v7, v4, v2 :: v_dual_cndmask_b32 v0, v5, v3
	v_dual_cndmask_b32 v3, v3, v5 :: v_dual_cndmask_b32 v2, v2, v4
	v_mul_lo_u32 v9, v7, s19
	s_delay_alu instid0(VALU_DEP_3) | instskip(SKIP_1) | instid1(VALU_DEP_4)
	v_mul_lo_u32 v8, v0, s18
	v_mad_u64_u32 v[0:1], null, v7, s18, 0
	v_lshlrev_b64 v[2:3], 1, v[2:3]
	s_delay_alu instid0(VALU_DEP_2) | instskip(NEXT) | instid1(VALU_DEP_1)
	v_add3_u32 v1, v1, v9, v8
	v_lshlrev_b64 v[0:1], 1, v[0:1]
	s_delay_alu instid0(VALU_DEP_1) | instskip(NEXT) | instid1(VALU_DEP_2)
	v_add_co_u32 v0, vcc_lo, s10, v0
	v_add_co_ci_u32_e32 v1, vcc_lo, s11, v1, vcc_lo
	s_delay_alu instid0(VALU_DEP_2) | instskip(NEXT) | instid1(VALU_DEP_2)
	v_add_co_u32 v0, vcc_lo, v0, v2
	v_add_co_ci_u32_e32 v1, vcc_lo, v1, v3, vcc_lo
	s_waitcnt vmcnt(0)
	global_store_b16 v[0:1], v6, off
.LBB7_2:
	s_nop 0
	s_sendmsg sendmsg(MSG_DEALLOC_VGPRS)
	s_endpgm
	.section	.rodata,"a",@progbits
	.p2align	6, 0x0
	.amdhsa_kernel _ZN9rocsparseL16coo2dense_kernelILj512El18rocsparse_bfloat16EEvT0_S2_ll21rocsparse_index_base_PKT1_PKS2_S8_PS4_16rocsparse_order_
		.amdhsa_group_segment_fixed_size 0
		.amdhsa_private_segment_fixed_size 0
		.amdhsa_kernarg_size 76
		.amdhsa_user_sgpr_count 15
		.amdhsa_user_sgpr_dispatch_ptr 0
		.amdhsa_user_sgpr_queue_ptr 0
		.amdhsa_user_sgpr_kernarg_segment_ptr 1
		.amdhsa_user_sgpr_dispatch_id 0
		.amdhsa_user_sgpr_private_segment_size 0
		.amdhsa_wavefront_size32 1
		.amdhsa_uses_dynamic_stack 0
		.amdhsa_enable_private_segment 0
		.amdhsa_system_sgpr_workgroup_id_x 1
		.amdhsa_system_sgpr_workgroup_id_y 0
		.amdhsa_system_sgpr_workgroup_id_z 0
		.amdhsa_system_sgpr_workgroup_info 0
		.amdhsa_system_vgpr_workitem_id 0
		.amdhsa_next_free_vgpr 10
		.amdhsa_next_free_sgpr 20
		.amdhsa_reserve_vcc 1
		.amdhsa_float_round_mode_32 0
		.amdhsa_float_round_mode_16_64 0
		.amdhsa_float_denorm_mode_32 3
		.amdhsa_float_denorm_mode_16_64 3
		.amdhsa_dx10_clamp 1
		.amdhsa_ieee_mode 1
		.amdhsa_fp16_overflow 0
		.amdhsa_workgroup_processor_mode 1
		.amdhsa_memory_ordered 1
		.amdhsa_forward_progress 0
		.amdhsa_shared_vgpr_count 0
		.amdhsa_exception_fp_ieee_invalid_op 0
		.amdhsa_exception_fp_denorm_src 0
		.amdhsa_exception_fp_ieee_div_zero 0
		.amdhsa_exception_fp_ieee_overflow 0
		.amdhsa_exception_fp_ieee_underflow 0
		.amdhsa_exception_fp_ieee_inexact 0
		.amdhsa_exception_int_div_zero 0
	.end_amdhsa_kernel
	.section	.text._ZN9rocsparseL16coo2dense_kernelILj512El18rocsparse_bfloat16EEvT0_S2_ll21rocsparse_index_base_PKT1_PKS2_S8_PS4_16rocsparse_order_,"axG",@progbits,_ZN9rocsparseL16coo2dense_kernelILj512El18rocsparse_bfloat16EEvT0_S2_ll21rocsparse_index_base_PKT1_PKS2_S8_PS4_16rocsparse_order_,comdat
.Lfunc_end7:
	.size	_ZN9rocsparseL16coo2dense_kernelILj512El18rocsparse_bfloat16EEvT0_S2_ll21rocsparse_index_base_PKT1_PKS2_S8_PS4_16rocsparse_order_, .Lfunc_end7-_ZN9rocsparseL16coo2dense_kernelILj512El18rocsparse_bfloat16EEvT0_S2_ll21rocsparse_index_base_PKT1_PKS2_S8_PS4_16rocsparse_order_
                                        ; -- End function
	.section	.AMDGPU.csdata,"",@progbits
; Kernel info:
; codeLenInByte = 332
; NumSgprs: 22
; NumVgprs: 10
; ScratchSize: 0
; MemoryBound: 0
; FloatMode: 240
; IeeeMode: 1
; LDSByteSize: 0 bytes/workgroup (compile time only)
; SGPRBlocks: 2
; VGPRBlocks: 1
; NumSGPRsForWavesPerEU: 22
; NumVGPRsForWavesPerEU: 10
; Occupancy: 16
; WaveLimiterHint : 1
; COMPUTE_PGM_RSRC2:SCRATCH_EN: 0
; COMPUTE_PGM_RSRC2:USER_SGPR: 15
; COMPUTE_PGM_RSRC2:TRAP_HANDLER: 0
; COMPUTE_PGM_RSRC2:TGID_X_EN: 1
; COMPUTE_PGM_RSRC2:TGID_Y_EN: 0
; COMPUTE_PGM_RSRC2:TGID_Z_EN: 0
; COMPUTE_PGM_RSRC2:TIDIG_COMP_CNT: 0
	.section	.text._ZN9rocsparseL16coo2dense_kernelILj512ElfEEvT0_S1_ll21rocsparse_index_base_PKT1_PKS1_S7_PS3_16rocsparse_order_,"axG",@progbits,_ZN9rocsparseL16coo2dense_kernelILj512ElfEEvT0_S1_ll21rocsparse_index_base_PKT1_PKS1_S7_PS3_16rocsparse_order_,comdat
	.globl	_ZN9rocsparseL16coo2dense_kernelILj512ElfEEvT0_S1_ll21rocsparse_index_base_PKT1_PKS1_S7_PS3_16rocsparse_order_ ; -- Begin function _ZN9rocsparseL16coo2dense_kernelILj512ElfEEvT0_S1_ll21rocsparse_index_base_PKT1_PKS1_S7_PS3_16rocsparse_order_
	.p2align	8
	.type	_ZN9rocsparseL16coo2dense_kernelILj512ElfEEvT0_S1_ll21rocsparse_index_base_PKT1_PKS1_S7_PS3_16rocsparse_order_,@function
_ZN9rocsparseL16coo2dense_kernelILj512ElfEEvT0_S1_ll21rocsparse_index_base_PKT1_PKS1_S7_PS3_16rocsparse_order_: ; @_ZN9rocsparseL16coo2dense_kernelILj512ElfEEvT0_S1_ll21rocsparse_index_base_PKT1_PKS1_S7_PS3_16rocsparse_order_
; %bb.0:
	s_load_b128 s[16:19], s[0:1], 0x10
	v_lshl_or_b32 v0, s15, 9, v0
	v_mov_b32_e32 v1, 0
	s_mov_b32 s2, exec_lo
	s_waitcnt lgkmcnt(0)
	s_delay_alu instid0(VALU_DEP_1)
	v_cmpx_gt_i64_e64 s[16:17], v[0:1]
	s_cbranch_execz .LBB8_2
; %bb.1:
	s_load_b256 s[4:11], s[0:1], 0x28
	v_lshlrev_b64 v[2:3], 3, v[0:1]
	v_lshlrev_b64 v[0:1], 2, v[0:1]
	s_waitcnt lgkmcnt(0)
	s_delay_alu instid0(VALU_DEP_2) | instskip(NEXT) | instid1(VALU_DEP_3)
	v_add_co_u32 v4, vcc_lo, s6, v2
	v_add_co_ci_u32_e32 v5, vcc_lo, s7, v3, vcc_lo
	v_add_co_u32 v2, vcc_lo, s8, v2
	v_add_co_ci_u32_e32 v3, vcc_lo, s9, v3, vcc_lo
	v_add_co_u32 v0, vcc_lo, s4, v0
	global_load_b64 v[4:5], v[4:5], off
	global_load_b64 v[2:3], v[2:3], off
	v_add_co_ci_u32_e32 v1, vcc_lo, s5, v1, vcc_lo
	global_load_b32 v6, v[0:1], off
	s_clause 0x1
	s_load_b32 s2, s[0:1], 0x20
	s_load_b32 s0, s[0:1], 0x48
	s_waitcnt lgkmcnt(0)
	s_cmp_eq_u32 s0, 1
	s_waitcnt vmcnt(2)
	v_sub_co_u32 v4, vcc_lo, v4, s2
	v_subrev_co_ci_u32_e32 v5, vcc_lo, 0, v5, vcc_lo
	s_waitcnt vmcnt(1)
	v_sub_co_u32 v2, vcc_lo, v2, s2
	v_subrev_co_ci_u32_e32 v3, vcc_lo, 0, v3, vcc_lo
	s_cselect_b32 vcc_lo, -1, 0
	s_delay_alu instid0(VALU_DEP_1) | instskip(SKIP_1) | instid1(VALU_DEP_2)
	v_dual_cndmask_b32 v7, v4, v2 :: v_dual_cndmask_b32 v0, v5, v3
	v_dual_cndmask_b32 v3, v3, v5 :: v_dual_cndmask_b32 v2, v2, v4
	v_mul_lo_u32 v9, v7, s19
	s_delay_alu instid0(VALU_DEP_3) | instskip(SKIP_1) | instid1(VALU_DEP_4)
	v_mul_lo_u32 v8, v0, s18
	v_mad_u64_u32 v[0:1], null, v7, s18, 0
	v_lshlrev_b64 v[2:3], 2, v[2:3]
	s_delay_alu instid0(VALU_DEP_2) | instskip(NEXT) | instid1(VALU_DEP_1)
	v_add3_u32 v1, v1, v9, v8
	v_lshlrev_b64 v[0:1], 2, v[0:1]
	s_delay_alu instid0(VALU_DEP_1) | instskip(NEXT) | instid1(VALU_DEP_2)
	v_add_co_u32 v0, vcc_lo, s10, v0
	v_add_co_ci_u32_e32 v1, vcc_lo, s11, v1, vcc_lo
	s_delay_alu instid0(VALU_DEP_2) | instskip(NEXT) | instid1(VALU_DEP_2)
	v_add_co_u32 v0, vcc_lo, v0, v2
	v_add_co_ci_u32_e32 v1, vcc_lo, v1, v3, vcc_lo
	s_waitcnt vmcnt(0)
	global_store_b32 v[0:1], v6, off
.LBB8_2:
	s_nop 0
	s_sendmsg sendmsg(MSG_DEALLOC_VGPRS)
	s_endpgm
	.section	.rodata,"a",@progbits
	.p2align	6, 0x0
	.amdhsa_kernel _ZN9rocsparseL16coo2dense_kernelILj512ElfEEvT0_S1_ll21rocsparse_index_base_PKT1_PKS1_S7_PS3_16rocsparse_order_
		.amdhsa_group_segment_fixed_size 0
		.amdhsa_private_segment_fixed_size 0
		.amdhsa_kernarg_size 76
		.amdhsa_user_sgpr_count 15
		.amdhsa_user_sgpr_dispatch_ptr 0
		.amdhsa_user_sgpr_queue_ptr 0
		.amdhsa_user_sgpr_kernarg_segment_ptr 1
		.amdhsa_user_sgpr_dispatch_id 0
		.amdhsa_user_sgpr_private_segment_size 0
		.amdhsa_wavefront_size32 1
		.amdhsa_uses_dynamic_stack 0
		.amdhsa_enable_private_segment 0
		.amdhsa_system_sgpr_workgroup_id_x 1
		.amdhsa_system_sgpr_workgroup_id_y 0
		.amdhsa_system_sgpr_workgroup_id_z 0
		.amdhsa_system_sgpr_workgroup_info 0
		.amdhsa_system_vgpr_workitem_id 0
		.amdhsa_next_free_vgpr 10
		.amdhsa_next_free_sgpr 20
		.amdhsa_reserve_vcc 1
		.amdhsa_float_round_mode_32 0
		.amdhsa_float_round_mode_16_64 0
		.amdhsa_float_denorm_mode_32 3
		.amdhsa_float_denorm_mode_16_64 3
		.amdhsa_dx10_clamp 1
		.amdhsa_ieee_mode 1
		.amdhsa_fp16_overflow 0
		.amdhsa_workgroup_processor_mode 1
		.amdhsa_memory_ordered 1
		.amdhsa_forward_progress 0
		.amdhsa_shared_vgpr_count 0
		.amdhsa_exception_fp_ieee_invalid_op 0
		.amdhsa_exception_fp_denorm_src 0
		.amdhsa_exception_fp_ieee_div_zero 0
		.amdhsa_exception_fp_ieee_overflow 0
		.amdhsa_exception_fp_ieee_underflow 0
		.amdhsa_exception_fp_ieee_inexact 0
		.amdhsa_exception_int_div_zero 0
	.end_amdhsa_kernel
	.section	.text._ZN9rocsparseL16coo2dense_kernelILj512ElfEEvT0_S1_ll21rocsparse_index_base_PKT1_PKS1_S7_PS3_16rocsparse_order_,"axG",@progbits,_ZN9rocsparseL16coo2dense_kernelILj512ElfEEvT0_S1_ll21rocsparse_index_base_PKT1_PKS1_S7_PS3_16rocsparse_order_,comdat
.Lfunc_end8:
	.size	_ZN9rocsparseL16coo2dense_kernelILj512ElfEEvT0_S1_ll21rocsparse_index_base_PKT1_PKS1_S7_PS3_16rocsparse_order_, .Lfunc_end8-_ZN9rocsparseL16coo2dense_kernelILj512ElfEEvT0_S1_ll21rocsparse_index_base_PKT1_PKS1_S7_PS3_16rocsparse_order_
                                        ; -- End function
	.section	.AMDGPU.csdata,"",@progbits
; Kernel info:
; codeLenInByte = 332
; NumSgprs: 22
; NumVgprs: 10
; ScratchSize: 0
; MemoryBound: 0
; FloatMode: 240
; IeeeMode: 1
; LDSByteSize: 0 bytes/workgroup (compile time only)
; SGPRBlocks: 2
; VGPRBlocks: 1
; NumSGPRsForWavesPerEU: 22
; NumVGPRsForWavesPerEU: 10
; Occupancy: 16
; WaveLimiterHint : 1
; COMPUTE_PGM_RSRC2:SCRATCH_EN: 0
; COMPUTE_PGM_RSRC2:USER_SGPR: 15
; COMPUTE_PGM_RSRC2:TRAP_HANDLER: 0
; COMPUTE_PGM_RSRC2:TGID_X_EN: 1
; COMPUTE_PGM_RSRC2:TGID_Y_EN: 0
; COMPUTE_PGM_RSRC2:TGID_Z_EN: 0
; COMPUTE_PGM_RSRC2:TIDIG_COMP_CNT: 0
	.section	.text._ZN9rocsparseL16coo2dense_kernelILj512EldEEvT0_S1_ll21rocsparse_index_base_PKT1_PKS1_S7_PS3_16rocsparse_order_,"axG",@progbits,_ZN9rocsparseL16coo2dense_kernelILj512EldEEvT0_S1_ll21rocsparse_index_base_PKT1_PKS1_S7_PS3_16rocsparse_order_,comdat
	.globl	_ZN9rocsparseL16coo2dense_kernelILj512EldEEvT0_S1_ll21rocsparse_index_base_PKT1_PKS1_S7_PS3_16rocsparse_order_ ; -- Begin function _ZN9rocsparseL16coo2dense_kernelILj512EldEEvT0_S1_ll21rocsparse_index_base_PKT1_PKS1_S7_PS3_16rocsparse_order_
	.p2align	8
	.type	_ZN9rocsparseL16coo2dense_kernelILj512EldEEvT0_S1_ll21rocsparse_index_base_PKT1_PKS1_S7_PS3_16rocsparse_order_,@function
_ZN9rocsparseL16coo2dense_kernelILj512EldEEvT0_S1_ll21rocsparse_index_base_PKT1_PKS1_S7_PS3_16rocsparse_order_: ; @_ZN9rocsparseL16coo2dense_kernelILj512EldEEvT0_S1_ll21rocsparse_index_base_PKT1_PKS1_S7_PS3_16rocsparse_order_
; %bb.0:
	s_load_b128 s[16:19], s[0:1], 0x10
	v_lshl_or_b32 v0, s15, 9, v0
	v_mov_b32_e32 v1, 0
	s_mov_b32 s2, exec_lo
	s_waitcnt lgkmcnt(0)
	s_delay_alu instid0(VALU_DEP_1)
	v_cmpx_gt_i64_e64 s[16:17], v[0:1]
	s_cbranch_execz .LBB9_2
; %bb.1:
	s_load_b256 s[4:11], s[0:1], 0x28
	v_lshlrev_b64 v[0:1], 3, v[0:1]
	s_waitcnt lgkmcnt(0)
	s_delay_alu instid0(VALU_DEP_1) | instskip(NEXT) | instid1(VALU_DEP_2)
	v_add_co_u32 v2, vcc_lo, s6, v0
	v_add_co_ci_u32_e32 v3, vcc_lo, s7, v1, vcc_lo
	v_add_co_u32 v4, vcc_lo, s8, v0
	v_add_co_ci_u32_e32 v5, vcc_lo, s9, v1, vcc_lo
	v_add_co_u32 v0, vcc_lo, s4, v0
	global_load_b64 v[2:3], v[2:3], off
	global_load_b64 v[4:5], v[4:5], off
	v_add_co_ci_u32_e32 v1, vcc_lo, s5, v1, vcc_lo
	global_load_b64 v[0:1], v[0:1], off
	s_clause 0x1
	s_load_b32 s2, s[0:1], 0x20
	s_load_b32 s0, s[0:1], 0x48
	s_waitcnt lgkmcnt(0)
	s_cmp_eq_u32 s0, 1
	s_waitcnt vmcnt(2)
	v_sub_co_u32 v6, vcc_lo, v2, s2
	v_subrev_co_ci_u32_e32 v7, vcc_lo, 0, v3, vcc_lo
	s_waitcnt vmcnt(1)
	v_sub_co_u32 v4, vcc_lo, v4, s2
	v_subrev_co_ci_u32_e32 v5, vcc_lo, 0, v5, vcc_lo
	s_cselect_b32 vcc_lo, -1, 0
	s_delay_alu instid0(VALU_DEP_2) | instskip(NEXT) | instid1(VALU_DEP_2)
	v_cndmask_b32_e32 v8, v6, v4, vcc_lo
	v_dual_cndmask_b32 v2, v7, v5 :: v_dual_cndmask_b32 v5, v5, v7
	v_cndmask_b32_e32 v4, v4, v6, vcc_lo
	s_delay_alu instid0(VALU_DEP_3) | instskip(NEXT) | instid1(VALU_DEP_3)
	v_mul_lo_u32 v10, v8, s19
	v_mul_lo_u32 v9, v2, s18
	v_mad_u64_u32 v[2:3], null, v8, s18, 0
	s_delay_alu instid0(VALU_DEP_4) | instskip(NEXT) | instid1(VALU_DEP_2)
	v_lshlrev_b64 v[4:5], 3, v[4:5]
	v_add3_u32 v3, v3, v10, v9
	s_delay_alu instid0(VALU_DEP_1) | instskip(NEXT) | instid1(VALU_DEP_1)
	v_lshlrev_b64 v[2:3], 3, v[2:3]
	v_add_co_u32 v2, vcc_lo, s10, v2
	s_delay_alu instid0(VALU_DEP_2) | instskip(NEXT) | instid1(VALU_DEP_2)
	v_add_co_ci_u32_e32 v3, vcc_lo, s11, v3, vcc_lo
	v_add_co_u32 v2, vcc_lo, v2, v4
	s_delay_alu instid0(VALU_DEP_2)
	v_add_co_ci_u32_e32 v3, vcc_lo, v3, v5, vcc_lo
	s_waitcnt vmcnt(0)
	global_store_b64 v[2:3], v[0:1], off
.LBB9_2:
	s_nop 0
	s_sendmsg sendmsg(MSG_DEALLOC_VGPRS)
	s_endpgm
	.section	.rodata,"a",@progbits
	.p2align	6, 0x0
	.amdhsa_kernel _ZN9rocsparseL16coo2dense_kernelILj512EldEEvT0_S1_ll21rocsparse_index_base_PKT1_PKS1_S7_PS3_16rocsparse_order_
		.amdhsa_group_segment_fixed_size 0
		.amdhsa_private_segment_fixed_size 0
		.amdhsa_kernarg_size 76
		.amdhsa_user_sgpr_count 15
		.amdhsa_user_sgpr_dispatch_ptr 0
		.amdhsa_user_sgpr_queue_ptr 0
		.amdhsa_user_sgpr_kernarg_segment_ptr 1
		.amdhsa_user_sgpr_dispatch_id 0
		.amdhsa_user_sgpr_private_segment_size 0
		.amdhsa_wavefront_size32 1
		.amdhsa_uses_dynamic_stack 0
		.amdhsa_enable_private_segment 0
		.amdhsa_system_sgpr_workgroup_id_x 1
		.amdhsa_system_sgpr_workgroup_id_y 0
		.amdhsa_system_sgpr_workgroup_id_z 0
		.amdhsa_system_sgpr_workgroup_info 0
		.amdhsa_system_vgpr_workitem_id 0
		.amdhsa_next_free_vgpr 11
		.amdhsa_next_free_sgpr 20
		.amdhsa_reserve_vcc 1
		.amdhsa_float_round_mode_32 0
		.amdhsa_float_round_mode_16_64 0
		.amdhsa_float_denorm_mode_32 3
		.amdhsa_float_denorm_mode_16_64 3
		.amdhsa_dx10_clamp 1
		.amdhsa_ieee_mode 1
		.amdhsa_fp16_overflow 0
		.amdhsa_workgroup_processor_mode 1
		.amdhsa_memory_ordered 1
		.amdhsa_forward_progress 0
		.amdhsa_shared_vgpr_count 0
		.amdhsa_exception_fp_ieee_invalid_op 0
		.amdhsa_exception_fp_denorm_src 0
		.amdhsa_exception_fp_ieee_div_zero 0
		.amdhsa_exception_fp_ieee_overflow 0
		.amdhsa_exception_fp_ieee_underflow 0
		.amdhsa_exception_fp_ieee_inexact 0
		.amdhsa_exception_int_div_zero 0
	.end_amdhsa_kernel
	.section	.text._ZN9rocsparseL16coo2dense_kernelILj512EldEEvT0_S1_ll21rocsparse_index_base_PKT1_PKS1_S7_PS3_16rocsparse_order_,"axG",@progbits,_ZN9rocsparseL16coo2dense_kernelILj512EldEEvT0_S1_ll21rocsparse_index_base_PKT1_PKS1_S7_PS3_16rocsparse_order_,comdat
.Lfunc_end9:
	.size	_ZN9rocsparseL16coo2dense_kernelILj512EldEEvT0_S1_ll21rocsparse_index_base_PKT1_PKS1_S7_PS3_16rocsparse_order_, .Lfunc_end9-_ZN9rocsparseL16coo2dense_kernelILj512EldEEvT0_S1_ll21rocsparse_index_base_PKT1_PKS1_S7_PS3_16rocsparse_order_
                                        ; -- End function
	.section	.AMDGPU.csdata,"",@progbits
; Kernel info:
; codeLenInByte = 328
; NumSgprs: 22
; NumVgprs: 11
; ScratchSize: 0
; MemoryBound: 0
; FloatMode: 240
; IeeeMode: 1
; LDSByteSize: 0 bytes/workgroup (compile time only)
; SGPRBlocks: 2
; VGPRBlocks: 1
; NumSGPRsForWavesPerEU: 22
; NumVGPRsForWavesPerEU: 11
; Occupancy: 16
; WaveLimiterHint : 1
; COMPUTE_PGM_RSRC2:SCRATCH_EN: 0
; COMPUTE_PGM_RSRC2:USER_SGPR: 15
; COMPUTE_PGM_RSRC2:TRAP_HANDLER: 0
; COMPUTE_PGM_RSRC2:TGID_X_EN: 1
; COMPUTE_PGM_RSRC2:TGID_Y_EN: 0
; COMPUTE_PGM_RSRC2:TGID_Z_EN: 0
; COMPUTE_PGM_RSRC2:TIDIG_COMP_CNT: 0
	.section	.text._ZN9rocsparseL16coo2dense_kernelILj512El21rocsparse_complex_numIfEEEvT0_S3_ll21rocsparse_index_base_PKT1_PKS3_S9_PS5_16rocsparse_order_,"axG",@progbits,_ZN9rocsparseL16coo2dense_kernelILj512El21rocsparse_complex_numIfEEEvT0_S3_ll21rocsparse_index_base_PKT1_PKS3_S9_PS5_16rocsparse_order_,comdat
	.globl	_ZN9rocsparseL16coo2dense_kernelILj512El21rocsparse_complex_numIfEEEvT0_S3_ll21rocsparse_index_base_PKT1_PKS3_S9_PS5_16rocsparse_order_ ; -- Begin function _ZN9rocsparseL16coo2dense_kernelILj512El21rocsparse_complex_numIfEEEvT0_S3_ll21rocsparse_index_base_PKT1_PKS3_S9_PS5_16rocsparse_order_
	.p2align	8
	.type	_ZN9rocsparseL16coo2dense_kernelILj512El21rocsparse_complex_numIfEEEvT0_S3_ll21rocsparse_index_base_PKT1_PKS3_S9_PS5_16rocsparse_order_,@function
_ZN9rocsparseL16coo2dense_kernelILj512El21rocsparse_complex_numIfEEEvT0_S3_ll21rocsparse_index_base_PKT1_PKS3_S9_PS5_16rocsparse_order_: ; @_ZN9rocsparseL16coo2dense_kernelILj512El21rocsparse_complex_numIfEEEvT0_S3_ll21rocsparse_index_base_PKT1_PKS3_S9_PS5_16rocsparse_order_
; %bb.0:
	s_load_b128 s[16:19], s[0:1], 0x10
	v_lshl_or_b32 v0, s15, 9, v0
	v_mov_b32_e32 v1, 0
	s_mov_b32 s2, exec_lo
	s_waitcnt lgkmcnt(0)
	s_delay_alu instid0(VALU_DEP_1)
	v_cmpx_gt_i64_e64 s[16:17], v[0:1]
	s_cbranch_execz .LBB10_2
; %bb.1:
	s_load_b256 s[4:11], s[0:1], 0x28
	v_lshlrev_b64 v[0:1], 3, v[0:1]
	s_waitcnt lgkmcnt(0)
	s_delay_alu instid0(VALU_DEP_1) | instskip(NEXT) | instid1(VALU_DEP_2)
	v_add_co_u32 v2, vcc_lo, s6, v0
	v_add_co_ci_u32_e32 v3, vcc_lo, s7, v1, vcc_lo
	v_add_co_u32 v4, vcc_lo, s8, v0
	v_add_co_ci_u32_e32 v5, vcc_lo, s9, v1, vcc_lo
	v_add_co_u32 v0, vcc_lo, s4, v0
	global_load_b64 v[2:3], v[2:3], off
	global_load_b64 v[4:5], v[4:5], off
	v_add_co_ci_u32_e32 v1, vcc_lo, s5, v1, vcc_lo
	global_load_b64 v[0:1], v[0:1], off
	s_clause 0x1
	s_load_b32 s2, s[0:1], 0x20
	s_load_b32 s0, s[0:1], 0x48
	s_waitcnt lgkmcnt(0)
	s_cmp_eq_u32 s0, 1
	s_waitcnt vmcnt(2)
	v_sub_co_u32 v6, vcc_lo, v2, s2
	v_subrev_co_ci_u32_e32 v7, vcc_lo, 0, v3, vcc_lo
	s_waitcnt vmcnt(1)
	v_sub_co_u32 v4, vcc_lo, v4, s2
	v_subrev_co_ci_u32_e32 v5, vcc_lo, 0, v5, vcc_lo
	s_cselect_b32 vcc_lo, -1, 0
	s_delay_alu instid0(VALU_DEP_2) | instskip(NEXT) | instid1(VALU_DEP_2)
	v_cndmask_b32_e32 v8, v6, v4, vcc_lo
	v_dual_cndmask_b32 v2, v7, v5 :: v_dual_cndmask_b32 v5, v5, v7
	v_cndmask_b32_e32 v4, v4, v6, vcc_lo
	s_delay_alu instid0(VALU_DEP_3) | instskip(NEXT) | instid1(VALU_DEP_3)
	v_mul_lo_u32 v10, v8, s19
	v_mul_lo_u32 v9, v2, s18
	v_mad_u64_u32 v[2:3], null, v8, s18, 0
	s_delay_alu instid0(VALU_DEP_4) | instskip(NEXT) | instid1(VALU_DEP_2)
	v_lshlrev_b64 v[4:5], 3, v[4:5]
	v_add3_u32 v3, v3, v10, v9
	s_delay_alu instid0(VALU_DEP_1) | instskip(NEXT) | instid1(VALU_DEP_1)
	v_lshlrev_b64 v[2:3], 3, v[2:3]
	v_add_co_u32 v2, vcc_lo, s10, v2
	s_delay_alu instid0(VALU_DEP_2) | instskip(NEXT) | instid1(VALU_DEP_2)
	v_add_co_ci_u32_e32 v3, vcc_lo, s11, v3, vcc_lo
	v_add_co_u32 v2, vcc_lo, v2, v4
	s_delay_alu instid0(VALU_DEP_2)
	v_add_co_ci_u32_e32 v3, vcc_lo, v3, v5, vcc_lo
	s_waitcnt vmcnt(0)
	global_store_b64 v[2:3], v[0:1], off
.LBB10_2:
	s_nop 0
	s_sendmsg sendmsg(MSG_DEALLOC_VGPRS)
	s_endpgm
	.section	.rodata,"a",@progbits
	.p2align	6, 0x0
	.amdhsa_kernel _ZN9rocsparseL16coo2dense_kernelILj512El21rocsparse_complex_numIfEEEvT0_S3_ll21rocsparse_index_base_PKT1_PKS3_S9_PS5_16rocsparse_order_
		.amdhsa_group_segment_fixed_size 0
		.amdhsa_private_segment_fixed_size 0
		.amdhsa_kernarg_size 76
		.amdhsa_user_sgpr_count 15
		.amdhsa_user_sgpr_dispatch_ptr 0
		.amdhsa_user_sgpr_queue_ptr 0
		.amdhsa_user_sgpr_kernarg_segment_ptr 1
		.amdhsa_user_sgpr_dispatch_id 0
		.amdhsa_user_sgpr_private_segment_size 0
		.amdhsa_wavefront_size32 1
		.amdhsa_uses_dynamic_stack 0
		.amdhsa_enable_private_segment 0
		.amdhsa_system_sgpr_workgroup_id_x 1
		.amdhsa_system_sgpr_workgroup_id_y 0
		.amdhsa_system_sgpr_workgroup_id_z 0
		.amdhsa_system_sgpr_workgroup_info 0
		.amdhsa_system_vgpr_workitem_id 0
		.amdhsa_next_free_vgpr 11
		.amdhsa_next_free_sgpr 20
		.amdhsa_reserve_vcc 1
		.amdhsa_float_round_mode_32 0
		.amdhsa_float_round_mode_16_64 0
		.amdhsa_float_denorm_mode_32 3
		.amdhsa_float_denorm_mode_16_64 3
		.amdhsa_dx10_clamp 1
		.amdhsa_ieee_mode 1
		.amdhsa_fp16_overflow 0
		.amdhsa_workgroup_processor_mode 1
		.amdhsa_memory_ordered 1
		.amdhsa_forward_progress 0
		.amdhsa_shared_vgpr_count 0
		.amdhsa_exception_fp_ieee_invalid_op 0
		.amdhsa_exception_fp_denorm_src 0
		.amdhsa_exception_fp_ieee_div_zero 0
		.amdhsa_exception_fp_ieee_overflow 0
		.amdhsa_exception_fp_ieee_underflow 0
		.amdhsa_exception_fp_ieee_inexact 0
		.amdhsa_exception_int_div_zero 0
	.end_amdhsa_kernel
	.section	.text._ZN9rocsparseL16coo2dense_kernelILj512El21rocsparse_complex_numIfEEEvT0_S3_ll21rocsparse_index_base_PKT1_PKS3_S9_PS5_16rocsparse_order_,"axG",@progbits,_ZN9rocsparseL16coo2dense_kernelILj512El21rocsparse_complex_numIfEEEvT0_S3_ll21rocsparse_index_base_PKT1_PKS3_S9_PS5_16rocsparse_order_,comdat
.Lfunc_end10:
	.size	_ZN9rocsparseL16coo2dense_kernelILj512El21rocsparse_complex_numIfEEEvT0_S3_ll21rocsparse_index_base_PKT1_PKS3_S9_PS5_16rocsparse_order_, .Lfunc_end10-_ZN9rocsparseL16coo2dense_kernelILj512El21rocsparse_complex_numIfEEEvT0_S3_ll21rocsparse_index_base_PKT1_PKS3_S9_PS5_16rocsparse_order_
                                        ; -- End function
	.section	.AMDGPU.csdata,"",@progbits
; Kernel info:
; codeLenInByte = 328
; NumSgprs: 22
; NumVgprs: 11
; ScratchSize: 0
; MemoryBound: 0
; FloatMode: 240
; IeeeMode: 1
; LDSByteSize: 0 bytes/workgroup (compile time only)
; SGPRBlocks: 2
; VGPRBlocks: 1
; NumSGPRsForWavesPerEU: 22
; NumVGPRsForWavesPerEU: 11
; Occupancy: 16
; WaveLimiterHint : 1
; COMPUTE_PGM_RSRC2:SCRATCH_EN: 0
; COMPUTE_PGM_RSRC2:USER_SGPR: 15
; COMPUTE_PGM_RSRC2:TRAP_HANDLER: 0
; COMPUTE_PGM_RSRC2:TGID_X_EN: 1
; COMPUTE_PGM_RSRC2:TGID_Y_EN: 0
; COMPUTE_PGM_RSRC2:TGID_Z_EN: 0
; COMPUTE_PGM_RSRC2:TIDIG_COMP_CNT: 0
	.section	.text._ZN9rocsparseL16coo2dense_kernelILj512El21rocsparse_complex_numIdEEEvT0_S3_ll21rocsparse_index_base_PKT1_PKS3_S9_PS5_16rocsparse_order_,"axG",@progbits,_ZN9rocsparseL16coo2dense_kernelILj512El21rocsparse_complex_numIdEEEvT0_S3_ll21rocsparse_index_base_PKT1_PKS3_S9_PS5_16rocsparse_order_,comdat
	.globl	_ZN9rocsparseL16coo2dense_kernelILj512El21rocsparse_complex_numIdEEEvT0_S3_ll21rocsparse_index_base_PKT1_PKS3_S9_PS5_16rocsparse_order_ ; -- Begin function _ZN9rocsparseL16coo2dense_kernelILj512El21rocsparse_complex_numIdEEEvT0_S3_ll21rocsparse_index_base_PKT1_PKS3_S9_PS5_16rocsparse_order_
	.p2align	8
	.type	_ZN9rocsparseL16coo2dense_kernelILj512El21rocsparse_complex_numIdEEEvT0_S3_ll21rocsparse_index_base_PKT1_PKS3_S9_PS5_16rocsparse_order_,@function
_ZN9rocsparseL16coo2dense_kernelILj512El21rocsparse_complex_numIdEEEvT0_S3_ll21rocsparse_index_base_PKT1_PKS3_S9_PS5_16rocsparse_order_: ; @_ZN9rocsparseL16coo2dense_kernelILj512El21rocsparse_complex_numIdEEEvT0_S3_ll21rocsparse_index_base_PKT1_PKS3_S9_PS5_16rocsparse_order_
; %bb.0:
	s_load_b128 s[16:19], s[0:1], 0x10
	v_lshl_or_b32 v0, s15, 9, v0
	v_mov_b32_e32 v1, 0
	s_mov_b32 s2, exec_lo
	s_waitcnt lgkmcnt(0)
	s_delay_alu instid0(VALU_DEP_1)
	v_cmpx_gt_i64_e64 s[16:17], v[0:1]
	s_cbranch_execz .LBB11_2
; %bb.1:
	s_load_b256 s[4:11], s[0:1], 0x28
	v_lshlrev_b64 v[2:3], 3, v[0:1]
	v_lshlrev_b64 v[0:1], 4, v[0:1]
	s_waitcnt lgkmcnt(0)
	s_delay_alu instid0(VALU_DEP_2) | instskip(NEXT) | instid1(VALU_DEP_3)
	v_add_co_u32 v4, vcc_lo, s6, v2
	v_add_co_ci_u32_e32 v5, vcc_lo, s7, v3, vcc_lo
	v_add_co_u32 v2, vcc_lo, s8, v2
	v_add_co_ci_u32_e32 v3, vcc_lo, s9, v3, vcc_lo
	v_add_co_u32 v0, vcc_lo, s4, v0
	global_load_b64 v[4:5], v[4:5], off
	global_load_b64 v[6:7], v[2:3], off
	v_add_co_ci_u32_e32 v1, vcc_lo, s5, v1, vcc_lo
	global_load_b128 v[0:3], v[0:1], off
	s_clause 0x1
	s_load_b32 s2, s[0:1], 0x20
	s_load_b32 s0, s[0:1], 0x48
	s_waitcnt lgkmcnt(0)
	s_cmp_eq_u32 s0, 1
	s_waitcnt vmcnt(2)
	v_sub_co_u32 v8, vcc_lo, v4, s2
	v_subrev_co_ci_u32_e32 v9, vcc_lo, 0, v5, vcc_lo
	s_waitcnt vmcnt(1)
	v_sub_co_u32 v6, vcc_lo, v6, s2
	v_subrev_co_ci_u32_e32 v7, vcc_lo, 0, v7, vcc_lo
	s_cselect_b32 vcc_lo, -1, 0
	s_delay_alu instid0(VALU_DEP_2) | instskip(NEXT) | instid1(VALU_DEP_2)
	v_cndmask_b32_e32 v10, v8, v6, vcc_lo
	v_dual_cndmask_b32 v4, v9, v7 :: v_dual_cndmask_b32 v7, v7, v9
	v_cndmask_b32_e32 v6, v6, v8, vcc_lo
	s_delay_alu instid0(VALU_DEP_3) | instskip(NEXT) | instid1(VALU_DEP_3)
	v_mul_lo_u32 v12, v10, s19
	v_mul_lo_u32 v11, v4, s18
	v_mad_u64_u32 v[4:5], null, v10, s18, 0
	s_delay_alu instid0(VALU_DEP_4) | instskip(NEXT) | instid1(VALU_DEP_2)
	v_lshlrev_b64 v[6:7], 4, v[6:7]
	v_add3_u32 v5, v5, v12, v11
	s_delay_alu instid0(VALU_DEP_1) | instskip(NEXT) | instid1(VALU_DEP_1)
	v_lshlrev_b64 v[4:5], 4, v[4:5]
	v_add_co_u32 v4, vcc_lo, s10, v4
	s_delay_alu instid0(VALU_DEP_2) | instskip(NEXT) | instid1(VALU_DEP_2)
	v_add_co_ci_u32_e32 v5, vcc_lo, s11, v5, vcc_lo
	v_add_co_u32 v4, vcc_lo, v4, v6
	s_delay_alu instid0(VALU_DEP_2)
	v_add_co_ci_u32_e32 v5, vcc_lo, v5, v7, vcc_lo
	s_waitcnt vmcnt(0)
	global_store_b128 v[4:5], v[0:3], off
.LBB11_2:
	s_nop 0
	s_sendmsg sendmsg(MSG_DEALLOC_VGPRS)
	s_endpgm
	.section	.rodata,"a",@progbits
	.p2align	6, 0x0
	.amdhsa_kernel _ZN9rocsparseL16coo2dense_kernelILj512El21rocsparse_complex_numIdEEEvT0_S3_ll21rocsparse_index_base_PKT1_PKS3_S9_PS5_16rocsparse_order_
		.amdhsa_group_segment_fixed_size 0
		.amdhsa_private_segment_fixed_size 0
		.amdhsa_kernarg_size 76
		.amdhsa_user_sgpr_count 15
		.amdhsa_user_sgpr_dispatch_ptr 0
		.amdhsa_user_sgpr_queue_ptr 0
		.amdhsa_user_sgpr_kernarg_segment_ptr 1
		.amdhsa_user_sgpr_dispatch_id 0
		.amdhsa_user_sgpr_private_segment_size 0
		.amdhsa_wavefront_size32 1
		.amdhsa_uses_dynamic_stack 0
		.amdhsa_enable_private_segment 0
		.amdhsa_system_sgpr_workgroup_id_x 1
		.amdhsa_system_sgpr_workgroup_id_y 0
		.amdhsa_system_sgpr_workgroup_id_z 0
		.amdhsa_system_sgpr_workgroup_info 0
		.amdhsa_system_vgpr_workitem_id 0
		.amdhsa_next_free_vgpr 13
		.amdhsa_next_free_sgpr 20
		.amdhsa_reserve_vcc 1
		.amdhsa_float_round_mode_32 0
		.amdhsa_float_round_mode_16_64 0
		.amdhsa_float_denorm_mode_32 3
		.amdhsa_float_denorm_mode_16_64 3
		.amdhsa_dx10_clamp 1
		.amdhsa_ieee_mode 1
		.amdhsa_fp16_overflow 0
		.amdhsa_workgroup_processor_mode 1
		.amdhsa_memory_ordered 1
		.amdhsa_forward_progress 0
		.amdhsa_shared_vgpr_count 0
		.amdhsa_exception_fp_ieee_invalid_op 0
		.amdhsa_exception_fp_denorm_src 0
		.amdhsa_exception_fp_ieee_div_zero 0
		.amdhsa_exception_fp_ieee_overflow 0
		.amdhsa_exception_fp_ieee_underflow 0
		.amdhsa_exception_fp_ieee_inexact 0
		.amdhsa_exception_int_div_zero 0
	.end_amdhsa_kernel
	.section	.text._ZN9rocsparseL16coo2dense_kernelILj512El21rocsparse_complex_numIdEEEvT0_S3_ll21rocsparse_index_base_PKT1_PKS3_S9_PS5_16rocsparse_order_,"axG",@progbits,_ZN9rocsparseL16coo2dense_kernelILj512El21rocsparse_complex_numIdEEEvT0_S3_ll21rocsparse_index_base_PKT1_PKS3_S9_PS5_16rocsparse_order_,comdat
.Lfunc_end11:
	.size	_ZN9rocsparseL16coo2dense_kernelILj512El21rocsparse_complex_numIdEEEvT0_S3_ll21rocsparse_index_base_PKT1_PKS3_S9_PS5_16rocsparse_order_, .Lfunc_end11-_ZN9rocsparseL16coo2dense_kernelILj512El21rocsparse_complex_numIdEEEvT0_S3_ll21rocsparse_index_base_PKT1_PKS3_S9_PS5_16rocsparse_order_
                                        ; -- End function
	.section	.AMDGPU.csdata,"",@progbits
; Kernel info:
; codeLenInByte = 336
; NumSgprs: 22
; NumVgprs: 13
; ScratchSize: 0
; MemoryBound: 0
; FloatMode: 240
; IeeeMode: 1
; LDSByteSize: 0 bytes/workgroup (compile time only)
; SGPRBlocks: 2
; VGPRBlocks: 1
; NumSGPRsForWavesPerEU: 22
; NumVGPRsForWavesPerEU: 13
; Occupancy: 16
; WaveLimiterHint : 1
; COMPUTE_PGM_RSRC2:SCRATCH_EN: 0
; COMPUTE_PGM_RSRC2:USER_SGPR: 15
; COMPUTE_PGM_RSRC2:TRAP_HANDLER: 0
; COMPUTE_PGM_RSRC2:TGID_X_EN: 1
; COMPUTE_PGM_RSRC2:TGID_Y_EN: 0
; COMPUTE_PGM_RSRC2:TGID_Z_EN: 0
; COMPUTE_PGM_RSRC2:TIDIG_COMP_CNT: 0
	.text
	.p2alignl 7, 3214868480
	.fill 96, 4, 3214868480
	.type	__hip_cuid_cc11cdc81cde4a7f,@object ; @__hip_cuid_cc11cdc81cde4a7f
	.section	.bss,"aw",@nobits
	.globl	__hip_cuid_cc11cdc81cde4a7f
__hip_cuid_cc11cdc81cde4a7f:
	.byte	0                               ; 0x0
	.size	__hip_cuid_cc11cdc81cde4a7f, 1

	.ident	"AMD clang version 19.0.0git (https://github.com/RadeonOpenCompute/llvm-project roc-6.4.0 25133 c7fe45cf4b819c5991fe208aaa96edf142730f1d)"
	.section	".note.GNU-stack","",@progbits
	.addrsig
	.addrsig_sym __hip_cuid_cc11cdc81cde4a7f
	.amdgpu_metadata
---
amdhsa.kernels:
  - .args:
      - .offset:         0
        .size:           4
        .value_kind:     by_value
      - .offset:         4
        .size:           4
        .value_kind:     by_value
      - .offset:         8
        .size:           8
        .value_kind:     by_value
      - .offset:         16
        .size:           8
        .value_kind:     by_value
      - .offset:         24
        .size:           4
        .value_kind:     by_value
      - .address_space:  global
        .offset:         32
        .size:           8
        .value_kind:     global_buffer
      - .address_space:  global
        .offset:         40
        .size:           8
        .value_kind:     global_buffer
      - .address_space:  global
        .offset:         48
        .size:           8
        .value_kind:     global_buffer
      - .address_space:  global
        .offset:         56
        .size:           8
        .value_kind:     global_buffer
      - .offset:         64
        .size:           4
        .value_kind:     by_value
    .group_segment_fixed_size: 0
    .kernarg_segment_align: 8
    .kernarg_segment_size: 68
    .language:       OpenCL C
    .language_version:
      - 2
      - 0
    .max_flat_workgroup_size: 512
    .name:           _ZN9rocsparseL16coo2dense_kernelILj512EiDF16_EEvT0_S1_ll21rocsparse_index_base_PKT1_PKS1_S7_PS3_16rocsparse_order_
    .private_segment_fixed_size: 0
    .sgpr_count:     22
    .sgpr_spill_count: 0
    .symbol:         _ZN9rocsparseL16coo2dense_kernelILj512EiDF16_EEvT0_S1_ll21rocsparse_index_base_PKT1_PKS1_S7_PS3_16rocsparse_order_.kd
    .uniform_work_group_size: 1
    .uses_dynamic_stack: false
    .vgpr_count:     8
    .vgpr_spill_count: 0
    .wavefront_size: 32
    .workgroup_processor_mode: 1
  - .args:
      - .offset:         0
        .size:           4
        .value_kind:     by_value
      - .offset:         4
        .size:           4
        .value_kind:     by_value
      - .offset:         8
        .size:           8
        .value_kind:     by_value
      - .offset:         16
        .size:           8
        .value_kind:     by_value
      - .offset:         24
        .size:           4
        .value_kind:     by_value
      - .address_space:  global
        .offset:         32
        .size:           8
        .value_kind:     global_buffer
      - .address_space:  global
        .offset:         40
        .size:           8
        .value_kind:     global_buffer
      - .address_space:  global
        .offset:         48
        .size:           8
        .value_kind:     global_buffer
      - .address_space:  global
        .offset:         56
        .size:           8
        .value_kind:     global_buffer
      - .offset:         64
        .size:           4
        .value_kind:     by_value
    .group_segment_fixed_size: 0
    .kernarg_segment_align: 8
    .kernarg_segment_size: 68
    .language:       OpenCL C
    .language_version:
      - 2
      - 0
    .max_flat_workgroup_size: 512
    .name:           _ZN9rocsparseL16coo2dense_kernelILj512Ei18rocsparse_bfloat16EEvT0_S2_ll21rocsparse_index_base_PKT1_PKS2_S8_PS4_16rocsparse_order_
    .private_segment_fixed_size: 0
    .sgpr_count:     22
    .sgpr_spill_count: 0
    .symbol:         _ZN9rocsparseL16coo2dense_kernelILj512Ei18rocsparse_bfloat16EEvT0_S2_ll21rocsparse_index_base_PKT1_PKS2_S8_PS4_16rocsparse_order_.kd
    .uniform_work_group_size: 1
    .uses_dynamic_stack: false
    .vgpr_count:     8
    .vgpr_spill_count: 0
    .wavefront_size: 32
    .workgroup_processor_mode: 1
  - .args:
      - .offset:         0
        .size:           4
        .value_kind:     by_value
      - .offset:         4
        .size:           4
        .value_kind:     by_value
      - .offset:         8
        .size:           8
        .value_kind:     by_value
      - .offset:         16
        .size:           8
        .value_kind:     by_value
      - .offset:         24
        .size:           4
        .value_kind:     by_value
      - .address_space:  global
        .offset:         32
        .size:           8
        .value_kind:     global_buffer
      - .address_space:  global
        .offset:         40
        .size:           8
        .value_kind:     global_buffer
      - .address_space:  global
        .offset:         48
        .size:           8
        .value_kind:     global_buffer
      - .address_space:  global
        .offset:         56
        .size:           8
        .value_kind:     global_buffer
      - .offset:         64
        .size:           4
        .value_kind:     by_value
    .group_segment_fixed_size: 0
    .kernarg_segment_align: 8
    .kernarg_segment_size: 68
    .language:       OpenCL C
    .language_version:
      - 2
      - 0
    .max_flat_workgroup_size: 512
    .name:           _ZN9rocsparseL16coo2dense_kernelILj512EifEEvT0_S1_ll21rocsparse_index_base_PKT1_PKS1_S7_PS3_16rocsparse_order_
    .private_segment_fixed_size: 0
    .sgpr_count:     18
    .sgpr_spill_count: 0
    .symbol:         _ZN9rocsparseL16coo2dense_kernelILj512EifEEvT0_S1_ll21rocsparse_index_base_PKT1_PKS1_S7_PS3_16rocsparse_order_.kd
    .uniform_work_group_size: 1
    .uses_dynamic_stack: false
    .vgpr_count:     8
    .vgpr_spill_count: 0
    .wavefront_size: 32
    .workgroup_processor_mode: 1
  - .args:
      - .offset:         0
        .size:           4
        .value_kind:     by_value
      - .offset:         4
        .size:           4
        .value_kind:     by_value
      - .offset:         8
        .size:           8
        .value_kind:     by_value
      - .offset:         16
        .size:           8
        .value_kind:     by_value
      - .offset:         24
        .size:           4
        .value_kind:     by_value
      - .address_space:  global
        .offset:         32
        .size:           8
        .value_kind:     global_buffer
      - .address_space:  global
        .offset:         40
        .size:           8
        .value_kind:     global_buffer
      - .address_space:  global
        .offset:         48
        .size:           8
        .value_kind:     global_buffer
      - .address_space:  global
        .offset:         56
        .size:           8
        .value_kind:     global_buffer
      - .offset:         64
        .size:           4
        .value_kind:     by_value
    .group_segment_fixed_size: 0
    .kernarg_segment_align: 8
    .kernarg_segment_size: 68
    .language:       OpenCL C
    .language_version:
      - 2
      - 0
    .max_flat_workgroup_size: 512
    .name:           _ZN9rocsparseL16coo2dense_kernelILj512EidEEvT0_S1_ll21rocsparse_index_base_PKT1_PKS1_S7_PS3_16rocsparse_order_
    .private_segment_fixed_size: 0
    .sgpr_count:     22
    .sgpr_spill_count: 0
    .symbol:         _ZN9rocsparseL16coo2dense_kernelILj512EidEEvT0_S1_ll21rocsparse_index_base_PKT1_PKS1_S7_PS3_16rocsparse_order_.kd
    .uniform_work_group_size: 1
    .uses_dynamic_stack: false
    .vgpr_count:     9
    .vgpr_spill_count: 0
    .wavefront_size: 32
    .workgroup_processor_mode: 1
  - .args:
      - .offset:         0
        .size:           4
        .value_kind:     by_value
      - .offset:         4
        .size:           4
        .value_kind:     by_value
      - .offset:         8
        .size:           8
        .value_kind:     by_value
      - .offset:         16
        .size:           8
        .value_kind:     by_value
      - .offset:         24
        .size:           4
        .value_kind:     by_value
      - .address_space:  global
        .offset:         32
        .size:           8
        .value_kind:     global_buffer
      - .address_space:  global
        .offset:         40
        .size:           8
        .value_kind:     global_buffer
      - .address_space:  global
        .offset:         48
        .size:           8
        .value_kind:     global_buffer
      - .address_space:  global
        .offset:         56
        .size:           8
        .value_kind:     global_buffer
      - .offset:         64
        .size:           4
        .value_kind:     by_value
    .group_segment_fixed_size: 0
    .kernarg_segment_align: 8
    .kernarg_segment_size: 68
    .language:       OpenCL C
    .language_version:
      - 2
      - 0
    .max_flat_workgroup_size: 512
    .name:           _ZN9rocsparseL16coo2dense_kernelILj512Ei21rocsparse_complex_numIfEEEvT0_S3_ll21rocsparse_index_base_PKT1_PKS3_S9_PS5_16rocsparse_order_
    .private_segment_fixed_size: 0
    .sgpr_count:     22
    .sgpr_spill_count: 0
    .symbol:         _ZN9rocsparseL16coo2dense_kernelILj512Ei21rocsparse_complex_numIfEEEvT0_S3_ll21rocsparse_index_base_PKT1_PKS3_S9_PS5_16rocsparse_order_.kd
    .uniform_work_group_size: 1
    .uses_dynamic_stack: false
    .vgpr_count:     9
    .vgpr_spill_count: 0
    .wavefront_size: 32
    .workgroup_processor_mode: 1
  - .args:
      - .offset:         0
        .size:           4
        .value_kind:     by_value
      - .offset:         4
        .size:           4
        .value_kind:     by_value
      - .offset:         8
        .size:           8
        .value_kind:     by_value
      - .offset:         16
        .size:           8
        .value_kind:     by_value
      - .offset:         24
        .size:           4
        .value_kind:     by_value
      - .address_space:  global
        .offset:         32
        .size:           8
        .value_kind:     global_buffer
      - .address_space:  global
        .offset:         40
        .size:           8
        .value_kind:     global_buffer
      - .address_space:  global
        .offset:         48
        .size:           8
        .value_kind:     global_buffer
      - .address_space:  global
        .offset:         56
        .size:           8
        .value_kind:     global_buffer
      - .offset:         64
        .size:           4
        .value_kind:     by_value
    .group_segment_fixed_size: 0
    .kernarg_segment_align: 8
    .kernarg_segment_size: 68
    .language:       OpenCL C
    .language_version:
      - 2
      - 0
    .max_flat_workgroup_size: 512
    .name:           _ZN9rocsparseL16coo2dense_kernelILj512Ei21rocsparse_complex_numIdEEEvT0_S3_ll21rocsparse_index_base_PKT1_PKS3_S9_PS5_16rocsparse_order_
    .private_segment_fixed_size: 0
    .sgpr_count:     22
    .sgpr_spill_count: 0
    .symbol:         _ZN9rocsparseL16coo2dense_kernelILj512Ei21rocsparse_complex_numIdEEEvT0_S3_ll21rocsparse_index_base_PKT1_PKS3_S9_PS5_16rocsparse_order_.kd
    .uniform_work_group_size: 1
    .uses_dynamic_stack: false
    .vgpr_count:     11
    .vgpr_spill_count: 0
    .wavefront_size: 32
    .workgroup_processor_mode: 1
  - .args:
      - .offset:         0
        .size:           8
        .value_kind:     by_value
      - .offset:         8
        .size:           8
        .value_kind:     by_value
      - .offset:         16
        .size:           8
        .value_kind:     by_value
      - .offset:         24
        .size:           8
        .value_kind:     by_value
      - .offset:         32
        .size:           4
        .value_kind:     by_value
      - .address_space:  global
        .offset:         40
        .size:           8
        .value_kind:     global_buffer
      - .address_space:  global
        .offset:         48
        .size:           8
        .value_kind:     global_buffer
      - .address_space:  global
        .offset:         56
        .size:           8
        .value_kind:     global_buffer
      - .address_space:  global
        .offset:         64
        .size:           8
        .value_kind:     global_buffer
      - .offset:         72
        .size:           4
        .value_kind:     by_value
    .group_segment_fixed_size: 0
    .kernarg_segment_align: 8
    .kernarg_segment_size: 76
    .language:       OpenCL C
    .language_version:
      - 2
      - 0
    .max_flat_workgroup_size: 512
    .name:           _ZN9rocsparseL16coo2dense_kernelILj512ElDF16_EEvT0_S1_ll21rocsparse_index_base_PKT1_PKS1_S7_PS3_16rocsparse_order_
    .private_segment_fixed_size: 0
    .sgpr_count:     22
    .sgpr_spill_count: 0
    .symbol:         _ZN9rocsparseL16coo2dense_kernelILj512ElDF16_EEvT0_S1_ll21rocsparse_index_base_PKT1_PKS1_S7_PS3_16rocsparse_order_.kd
    .uniform_work_group_size: 1
    .uses_dynamic_stack: false
    .vgpr_count:     10
    .vgpr_spill_count: 0
    .wavefront_size: 32
    .workgroup_processor_mode: 1
  - .args:
      - .offset:         0
        .size:           8
        .value_kind:     by_value
      - .offset:         8
        .size:           8
        .value_kind:     by_value
      - .offset:         16
        .size:           8
        .value_kind:     by_value
      - .offset:         24
        .size:           8
        .value_kind:     by_value
      - .offset:         32
        .size:           4
        .value_kind:     by_value
      - .address_space:  global
        .offset:         40
        .size:           8
        .value_kind:     global_buffer
      - .address_space:  global
        .offset:         48
        .size:           8
        .value_kind:     global_buffer
      - .address_space:  global
        .offset:         56
        .size:           8
        .value_kind:     global_buffer
      - .address_space:  global
        .offset:         64
        .size:           8
        .value_kind:     global_buffer
      - .offset:         72
        .size:           4
        .value_kind:     by_value
    .group_segment_fixed_size: 0
    .kernarg_segment_align: 8
    .kernarg_segment_size: 76
    .language:       OpenCL C
    .language_version:
      - 2
      - 0
    .max_flat_workgroup_size: 512
    .name:           _ZN9rocsparseL16coo2dense_kernelILj512El18rocsparse_bfloat16EEvT0_S2_ll21rocsparse_index_base_PKT1_PKS2_S8_PS4_16rocsparse_order_
    .private_segment_fixed_size: 0
    .sgpr_count:     22
    .sgpr_spill_count: 0
    .symbol:         _ZN9rocsparseL16coo2dense_kernelILj512El18rocsparse_bfloat16EEvT0_S2_ll21rocsparse_index_base_PKT1_PKS2_S8_PS4_16rocsparse_order_.kd
    .uniform_work_group_size: 1
    .uses_dynamic_stack: false
    .vgpr_count:     10
    .vgpr_spill_count: 0
    .wavefront_size: 32
    .workgroup_processor_mode: 1
  - .args:
      - .offset:         0
        .size:           8
        .value_kind:     by_value
      - .offset:         8
        .size:           8
        .value_kind:     by_value
      - .offset:         16
        .size:           8
        .value_kind:     by_value
      - .offset:         24
        .size:           8
        .value_kind:     by_value
      - .offset:         32
        .size:           4
        .value_kind:     by_value
      - .address_space:  global
        .offset:         40
        .size:           8
        .value_kind:     global_buffer
      - .address_space:  global
        .offset:         48
        .size:           8
        .value_kind:     global_buffer
      - .address_space:  global
        .offset:         56
        .size:           8
        .value_kind:     global_buffer
      - .address_space:  global
        .offset:         64
        .size:           8
        .value_kind:     global_buffer
      - .offset:         72
        .size:           4
        .value_kind:     by_value
    .group_segment_fixed_size: 0
    .kernarg_segment_align: 8
    .kernarg_segment_size: 76
    .language:       OpenCL C
    .language_version:
      - 2
      - 0
    .max_flat_workgroup_size: 512
    .name:           _ZN9rocsparseL16coo2dense_kernelILj512ElfEEvT0_S1_ll21rocsparse_index_base_PKT1_PKS1_S7_PS3_16rocsparse_order_
    .private_segment_fixed_size: 0
    .sgpr_count:     22
    .sgpr_spill_count: 0
    .symbol:         _ZN9rocsparseL16coo2dense_kernelILj512ElfEEvT0_S1_ll21rocsparse_index_base_PKT1_PKS1_S7_PS3_16rocsparse_order_.kd
    .uniform_work_group_size: 1
    .uses_dynamic_stack: false
    .vgpr_count:     10
    .vgpr_spill_count: 0
    .wavefront_size: 32
    .workgroup_processor_mode: 1
  - .args:
      - .offset:         0
        .size:           8
        .value_kind:     by_value
      - .offset:         8
        .size:           8
        .value_kind:     by_value
      - .offset:         16
        .size:           8
        .value_kind:     by_value
      - .offset:         24
        .size:           8
        .value_kind:     by_value
      - .offset:         32
        .size:           4
        .value_kind:     by_value
      - .address_space:  global
        .offset:         40
        .size:           8
        .value_kind:     global_buffer
      - .address_space:  global
        .offset:         48
        .size:           8
        .value_kind:     global_buffer
      - .address_space:  global
        .offset:         56
        .size:           8
        .value_kind:     global_buffer
      - .address_space:  global
        .offset:         64
        .size:           8
        .value_kind:     global_buffer
      - .offset:         72
        .size:           4
        .value_kind:     by_value
    .group_segment_fixed_size: 0
    .kernarg_segment_align: 8
    .kernarg_segment_size: 76
    .language:       OpenCL C
    .language_version:
      - 2
      - 0
    .max_flat_workgroup_size: 512
    .name:           _ZN9rocsparseL16coo2dense_kernelILj512EldEEvT0_S1_ll21rocsparse_index_base_PKT1_PKS1_S7_PS3_16rocsparse_order_
    .private_segment_fixed_size: 0
    .sgpr_count:     22
    .sgpr_spill_count: 0
    .symbol:         _ZN9rocsparseL16coo2dense_kernelILj512EldEEvT0_S1_ll21rocsparse_index_base_PKT1_PKS1_S7_PS3_16rocsparse_order_.kd
    .uniform_work_group_size: 1
    .uses_dynamic_stack: false
    .vgpr_count:     11
    .vgpr_spill_count: 0
    .wavefront_size: 32
    .workgroup_processor_mode: 1
  - .args:
      - .offset:         0
        .size:           8
        .value_kind:     by_value
      - .offset:         8
        .size:           8
        .value_kind:     by_value
      - .offset:         16
        .size:           8
        .value_kind:     by_value
      - .offset:         24
        .size:           8
        .value_kind:     by_value
      - .offset:         32
        .size:           4
        .value_kind:     by_value
      - .address_space:  global
        .offset:         40
        .size:           8
        .value_kind:     global_buffer
      - .address_space:  global
        .offset:         48
        .size:           8
        .value_kind:     global_buffer
      - .address_space:  global
        .offset:         56
        .size:           8
        .value_kind:     global_buffer
      - .address_space:  global
        .offset:         64
        .size:           8
        .value_kind:     global_buffer
      - .offset:         72
        .size:           4
        .value_kind:     by_value
    .group_segment_fixed_size: 0
    .kernarg_segment_align: 8
    .kernarg_segment_size: 76
    .language:       OpenCL C
    .language_version:
      - 2
      - 0
    .max_flat_workgroup_size: 512
    .name:           _ZN9rocsparseL16coo2dense_kernelILj512El21rocsparse_complex_numIfEEEvT0_S3_ll21rocsparse_index_base_PKT1_PKS3_S9_PS5_16rocsparse_order_
    .private_segment_fixed_size: 0
    .sgpr_count:     22
    .sgpr_spill_count: 0
    .symbol:         _ZN9rocsparseL16coo2dense_kernelILj512El21rocsparse_complex_numIfEEEvT0_S3_ll21rocsparse_index_base_PKT1_PKS3_S9_PS5_16rocsparse_order_.kd
    .uniform_work_group_size: 1
    .uses_dynamic_stack: false
    .vgpr_count:     11
    .vgpr_spill_count: 0
    .wavefront_size: 32
    .workgroup_processor_mode: 1
  - .args:
      - .offset:         0
        .size:           8
        .value_kind:     by_value
      - .offset:         8
        .size:           8
        .value_kind:     by_value
      - .offset:         16
        .size:           8
        .value_kind:     by_value
      - .offset:         24
        .size:           8
        .value_kind:     by_value
      - .offset:         32
        .size:           4
        .value_kind:     by_value
      - .address_space:  global
        .offset:         40
        .size:           8
        .value_kind:     global_buffer
      - .address_space:  global
        .offset:         48
        .size:           8
        .value_kind:     global_buffer
      - .address_space:  global
        .offset:         56
        .size:           8
        .value_kind:     global_buffer
      - .address_space:  global
        .offset:         64
        .size:           8
        .value_kind:     global_buffer
      - .offset:         72
        .size:           4
        .value_kind:     by_value
    .group_segment_fixed_size: 0
    .kernarg_segment_align: 8
    .kernarg_segment_size: 76
    .language:       OpenCL C
    .language_version:
      - 2
      - 0
    .max_flat_workgroup_size: 512
    .name:           _ZN9rocsparseL16coo2dense_kernelILj512El21rocsparse_complex_numIdEEEvT0_S3_ll21rocsparse_index_base_PKT1_PKS3_S9_PS5_16rocsparse_order_
    .private_segment_fixed_size: 0
    .sgpr_count:     22
    .sgpr_spill_count: 0
    .symbol:         _ZN9rocsparseL16coo2dense_kernelILj512El21rocsparse_complex_numIdEEEvT0_S3_ll21rocsparse_index_base_PKT1_PKS3_S9_PS5_16rocsparse_order_.kd
    .uniform_work_group_size: 1
    .uses_dynamic_stack: false
    .vgpr_count:     13
    .vgpr_spill_count: 0
    .wavefront_size: 32
    .workgroup_processor_mode: 1
amdhsa.target:   amdgcn-amd-amdhsa--gfx1100
amdhsa.version:
  - 1
  - 2
...

	.end_amdgpu_metadata
